;; amdgpu-corpus repo=ROCm/rocFFT kind=compiled arch=gfx90a opt=O3
	.text
	.amdgcn_target "amdgcn-amd-amdhsa--gfx90a"
	.amdhsa_code_object_version 6
	.protected	bluestein_single_fwd_len169_dim1_sp_op_CI_CI ; -- Begin function bluestein_single_fwd_len169_dim1_sp_op_CI_CI
	.globl	bluestein_single_fwd_len169_dim1_sp_op_CI_CI
	.p2align	8
	.type	bluestein_single_fwd_len169_dim1_sp_op_CI_CI,@function
bluestein_single_fwd_len169_dim1_sp_op_CI_CI: ; @bluestein_single_fwd_len169_dim1_sp_op_CI_CI
; %bb.0:
	s_load_dwordx4 s[16:19], s[4:5], 0x28
	v_mul_u32_u24_e32 v1, 0x13b2, v0
	v_lshrrev_b32_e32 v2, 16, v1
	v_mad_u64_u32 v[36:37], s[0:1], s6, 19, v[2:3]
	v_mov_b32_e32 v37, 0
	s_waitcnt lgkmcnt(0)
	v_cmp_gt_u64_e32 vcc, s[16:17], v[36:37]
	s_and_saveexec_b64 s[0:1], vcc
	s_cbranch_execz .LBB0_2
; %bb.1:
	s_load_dwordx4 s[0:3], s[4:5], 0x18
	v_mul_lo_u16_e32 v1, 13, v2
	v_sub_u16_e32 v125, v0, v1
	v_mov_b32_e32 v37, 0x68
	v_lshlrev_b32_e32 v127, 3, v125
	s_waitcnt lgkmcnt(0)
	s_load_dwordx4 s[12:15], s[0:1], 0x0
	s_load_dwordx4 s[8:11], s[4:5], 0x0
	s_mov_b32 s26, 0xbeedf032
	s_mov_b32 s27, 0x3f62ad3f
	s_mov_b32 s52, s27
	s_waitcnt lgkmcnt(0)
	v_mad_u64_u32 v[0:1], s[0:1], s14, v36, 0
	v_mov_b32_e32 v4, v1
	v_mad_u64_u32 v[2:3], s[0:1], s12, v125, 0
	v_mad_u64_u32 v[4:5], s[0:1], s15, v36, v[4:5]
	v_mov_b32_e32 v6, v3
	v_mov_b32_e32 v1, v4
	v_mad_u64_u32 v[4:5], s[0:1], s13, v125, v[6:7]
	v_lshlrev_b64 v[0:1], 3, v[0:1]
	v_mov_b32_e32 v3, v4
	v_mov_b32_e32 v4, s19
	v_add_co_u32_e32 v5, vcc, s18, v0
	v_addc_co_u32_e32 v4, vcc, v4, v1, vcc
	v_lshlrev_b64 v[0:1], 3, v[2:3]
	v_add_co_u32_e32 v0, vcc, v5, v0
	v_addc_co_u32_e32 v1, vcc, v4, v1, vcc
	global_load_dwordx2 v[2:3], v[0:1], off
	v_mad_u64_u32 v[0:1], s[0:1], s12, v37, v[0:1]
	s_mul_i32 s6, s13, 0x68
	v_add_u32_e32 v1, s6, v1
	global_load_dwordx2 v[4:5], v[0:1], off
	global_load_dwordx2 v[54:55], v127, s[8:9]
	v_mad_u64_u32 v[0:1], s[0:1], s12, v37, v[0:1]
	v_add_u32_e32 v1, s6, v1
	v_mad_u64_u32 v[6:7], s[0:1], s12, v37, v[0:1]
	v_add_u32_e32 v7, s6, v7
	global_load_dwordx2 v[52:53], v127, s[8:9] offset:104
	global_load_dwordx2 v[50:51], v127, s[8:9] offset:208
	;; [unrolled: 1-line block ×3, first 2 shown]
	global_load_dwordx2 v[8:9], v[0:1], off
	v_mad_u64_u32 v[0:1], s[0:1], s12, v37, v[6:7]
	v_add_u32_e32 v1, s6, v1
	global_load_dwordx2 v[10:11], v[6:7], off
	global_load_dwordx2 v[12:13], v[0:1], off
	v_mad_u64_u32 v[0:1], s[0:1], s12, v37, v[0:1]
	v_add_u32_e32 v1, s6, v1
	global_load_dwordx2 v[6:7], v[0:1], off
	global_load_dwordx2 v[48:49], v127, s[8:9] offset:416
	v_mad_u64_u32 v[0:1], s[0:1], s12, v37, v[0:1]
	v_add_u32_e32 v1, s6, v1
	global_load_dwordx2 v[46:47], v127, s[8:9] offset:520
	global_load_dwordx2 v[14:15], v[0:1], off
	v_mad_u64_u32 v[0:1], s[0:1], s12, v37, v[0:1]
	v_add_u32_e32 v1, s6, v1
	global_load_dwordx2 v[42:43], v127, s[8:9] offset:624
	global_load_dwordx2 v[16:17], v[0:1], off
	global_load_dwordx2 v[40:41], v127, s[8:9] offset:728
	v_mad_u64_u32 v[0:1], s[0:1], s12, v37, v[0:1]
	v_add_u32_e32 v1, s6, v1
	global_load_dwordx2 v[18:19], v[0:1], off
	v_mad_u64_u32 v[0:1], s[0:1], s12, v37, v[0:1]
	v_add_u32_e32 v1, s6, v1
	global_load_dwordx2 v[38:39], v127, s[8:9] offset:832
	global_load_dwordx2 v[20:21], v[0:1], off
	global_load_dwordx2 v[34:35], v127, s[8:9] offset:936
	v_mad_u64_u32 v[0:1], s[0:1], s12, v37, v[0:1]
	v_add_u32_e32 v1, s6, v1
	global_load_dwordx2 v[22:23], v[0:1], off
	global_load_dwordx2 v[32:33], v127, s[8:9] offset:1040
	v_mad_u64_u32 v[0:1], s[0:1], s12, v37, v[0:1]
	v_add_u32_e32 v1, s6, v1
	;; [unrolled: 4-line block ×3, first 2 shown]
	global_load_dwordx2 v[26:27], v[0:1], off
	global_load_dwordx2 v[28:29], v127, s[8:9] offset:1248
	s_mov_b32 s0, 0xaf286bcb
	v_mul_hi_u32 v0, v36, s0
	v_sub_u32_e32 v1, v36, v0
	v_lshrrev_b32_e32 v1, 1, v1
	v_add_u32_e32 v0, v1, v0
	v_lshrrev_b32_e32 v0, 4, v0
	v_mul_lo_u32 v0, v0, 19
	v_sub_u32_e32 v0, v36, v0
	v_mul_u32_u24_e32 v1, 0xa9, v0
	v_lshlrev_b32_e32 v56, 3, v1
	v_add_u32_e32 v124, v127, v56
	s_load_dwordx4 s[0:3], s[2:3], 0x0
	s_mov_b32 s53, s26
	s_mov_b32 s12, 0xbf52af12
	;; [unrolled: 1-line block ×22, first 2 shown]
	s_waitcnt vmcnt(23)
	v_mul_f32_e32 v0, v3, v55
	v_mul_f32_e32 v1, v2, v55
	v_fmac_f32_e32 v0, v2, v54
	v_fma_f32 v1, v3, v54, -v1
	s_mov_b32 s50, s15
	s_mov_b32 s51, s24
	;; [unrolled: 1-line block ×3, first 2 shown]
	s_waitcnt vmcnt(22)
	v_mul_f32_e32 v2, v5, v53
	v_mul_f32_e32 v3, v4, v53
	v_fmac_f32_e32 v2, v4, v52
	v_fma_f32 v3, v5, v52, -v3
	ds_write2_b64 v124, v[0:1], v[2:3] offset1:13
	s_waitcnt vmcnt(19)
	v_mul_f32_e32 v0, v9, v51
	v_mul_f32_e32 v1, v8, v51
	s_waitcnt vmcnt(18)
	v_mul_f32_e32 v2, v11, v45
	v_mul_f32_e32 v3, v10, v45
	v_fmac_f32_e32 v0, v8, v50
	v_fma_f32 v1, v9, v50, -v1
	v_fmac_f32_e32 v2, v10, v44
	v_fma_f32 v3, v11, v44, -v3
	ds_write2_b64 v124, v[0:1], v[2:3] offset0:26 offset1:39
	s_waitcnt vmcnt(15)
	v_mul_f32_e32 v0, v13, v49
	v_mul_f32_e32 v1, v12, v49
	s_waitcnt vmcnt(14)
	v_mul_f32_e32 v2, v7, v47
	v_mul_f32_e32 v3, v6, v47
	v_fmac_f32_e32 v0, v12, v48
	v_fma_f32 v1, v13, v48, -v1
	v_fmac_f32_e32 v2, v6, v46
	v_fma_f32 v3, v7, v46, -v3
	ds_write2_b64 v124, v[0:1], v[2:3] offset0:52 offset1:65
	;; [unrolled: 11-line block ×5, first 2 shown]
	s_waitcnt vmcnt(0)
	v_mul_f32_e32 v0, v27, v29
	v_mul_f32_e32 v1, v26, v29
	v_fmac_f32_e32 v0, v26, v28
	v_fma_f32 v1, v27, v28, -v1
	ds_write_b64 v124, v[0:1] offset:1248
	v_mul_lo_u16_e32 v0, 13, v125
	s_waitcnt lgkmcnt(0)
	s_barrier
	ds_read2_b64 v[4:7], v124 offset0:26 offset1:39
	v_lshl_add_u32 v126, v0, 3, v56
	ds_read2_b64 v[8:11], v124 offset0:130 offset1:143
	ds_read2_b64 v[12:15], v124 offset0:52 offset1:65
	;; [unrolled: 1-line block ×4, first 2 shown]
	ds_read_b64 v[24:25], v124 offset:1248
	ds_read2_b64 v[0:3], v124 offset1:13
	s_waitcnt lgkmcnt(0)
	v_pk_add_f32 v[82:83], v[8:9], v[6:7]
	v_pk_add_f32 v[56:57], v[6:7], v[8:9] neg_lo:[0,1] neg_hi:[0,1]
	v_pk_add_f32 v[88:89], v[10:11], v[4:5]
	v_pk_add_f32 v[98:99], v[24:25], v[2:3]
	v_pk_add_f32 v[64:65], v[2:3], v[24:25] neg_lo:[0,1] neg_hi:[0,1]
	v_pk_add_f32 v[2:3], v[0:1], v[2:3]
	v_pk_add_f32 v[2:3], v[2:3], v[4:5]
	;; [unrolled: 1-line block ×12, first 2 shown]
	v_mov_b32_e32 v3, v99
	v_mov_b32_e32 v99, v64
	;; [unrolled: 1-line block ×3, first 2 shown]
	v_pk_mul_f32 v[6:7], v[98:99], s[52:53]
	v_pk_add_f32 v[26:27], v[4:5], v[10:11] neg_lo:[0,1] neg_hi:[0,1]
	v_pk_fma_f32 v[8:9], v[2:3], s[26:27], v[6:7] neg_lo:[1,0,0] neg_hi:[1,0,0]
	v_pk_fma_f32 v[4:5], v[2:3], s[26:27], v[6:7]
	v_mov_b32_e32 v9, v5
	v_pk_add_f32 v[78:79], v[20:21], v[14:15]
	v_pk_add_f32 v[60:61], v[14:15], v[20:21] neg_lo:[0,1] neg_hi:[0,1]
	v_pk_add_f32 v[14:15], v[0:1], v[8:9]
	v_mov_b32_e32 v9, v89
	v_mov_b32_e32 v89, v26
	v_pk_add_f32 v[74:75], v[22:23], v[12:13]
	v_pk_add_f32 v[58:59], v[12:13], v[22:23] neg_lo:[0,1] neg_hi:[0,1]
	v_mov_b32_e32 v8, v27
	v_pk_mul_f32 v[12:13], v[88:89], s[38:39]
	v_pk_add_f32 v[72:73], v[18:19], v[16:17]
	v_pk_add_f32 v[62:63], v[16:17], v[18:19] neg_lo:[0,1] neg_hi:[0,1]
	v_pk_fma_f32 v[16:17], v[8:9], s[12:13], v[12:13] neg_lo:[1,0,0] neg_hi:[1,0,0]
	v_pk_fma_f32 v[10:11], v[8:9], s[12:13], v[12:13]
	v_mov_b32_e32 v17, v11
	v_pk_add_f32 v[20:21], v[16:17], v[14:15]
	v_mov_b32_e32 v15, v83
	v_mov_b32_e32 v83, v56
	v_mov_b32_e32 v14, v57
	v_pk_mul_f32 v[18:19], v[82:83], s[44:45]
	v_pk_fma_f32 v[22:23], v[14:15], s[18:19], v[18:19] neg_lo:[1,0,0] neg_hi:[1,0,0]
	v_pk_fma_f32 v[16:17], v[14:15], s[18:19], v[18:19]
	v_mov_b32_e32 v23, v17
	v_pk_add_f32 v[26:27], v[22:23], v[20:21]
	v_mov_b32_e32 v21, v75
	v_mov_b32_e32 v75, v58
	v_mov_b32_e32 v20, v59
	v_pk_mul_f32 v[24:25], v[74:75], s[36:37]
	;; [unrolled: 8-line block ×4, first 2 shown]
	v_pk_fma_f32 v[70:71], v[60:61], s[16:17], v[64:65] neg_lo:[1,0,0] neg_hi:[1,0,0]
	v_pk_fma_f32 v[62:63], v[60:61], s[16:17], v[64:65]
	v_mov_b32_e32 v71, v63
	v_pk_add_f32 v[68:69], v[70:71], v[68:69]
	v_pk_mul_f32 v[76:77], v[98:99], s[38:39]
	s_barrier
	ds_write2_b64 v126, v[66:67], v[68:69] offset1:1
	v_pk_fma_f32 v[102:103], v[2:3], s[12:13], v[76:77] neg_lo:[1,0,0] neg_hi:[1,0,0]
	v_pk_fma_f32 v[66:67], v[2:3], s[12:13], v[76:77]
	v_pk_mul_f32 v[84:85], v[88:89], s[36:37]
	v_mov_b32_e32 v103, v67
	v_pk_fma_f32 v[104:105], v[8:9], s[6:7], v[84:85] neg_lo:[1,0,0] neg_hi:[1,0,0]
	v_pk_fma_f32 v[68:69], v[8:9], s[6:7], v[84:85]
	v_pk_mul_f32 v[86:87], v[82:83], s[42:43]
	v_mov_b32_e32 v105, v69
	v_pk_fma_f32 v[106:107], v[14:15], s[16:17], v[86:87] neg_lo:[1,0,0] neg_hi:[1,0,0]
	v_pk_fma_f32 v[70:71], v[14:15], s[16:17], v[86:87]
	s_mov_b32 s25, s15
	v_pk_mul_f32 v[92:93], v[74:75], s[50:51]
	s_mov_b32 s46, s19
	s_mov_b32 s47, s20
	;; [unrolled: 1-line block ×3, first 2 shown]
	v_pk_add_f32 v[102:103], v[0:1], v[102:103]
	v_mov_b32_e32 v107, v71
	v_pk_fma_f32 v[108:109], v[20:21], s[24:25], v[92:93] neg_lo:[1,0,0] neg_hi:[1,0,0]
	v_pk_fma_f32 v[80:81], v[20:21], s[24:25], v[92:93]
	s_mov_b32 s21, s19
	v_pk_mul_f32 v[94:95], v[78:79], s[46:47]
	s_mov_b32 s48, s27
	s_mov_b32 s49, s22
	v_pk_add_f32 v[102:103], v[104:105], v[102:103]
	v_mov_b32_e32 v109, v81
	v_pk_fma_f32 v[110:111], v[26:27], s[20:21], v[94:95] neg_lo:[1,0,0] neg_hi:[1,0,0]
	v_pk_fma_f32 v[90:91], v[26:27], s[20:21], v[94:95]
	s_mov_b32 s23, s27
	v_pk_mul_f32 v[100:101], v[72:73], s[48:49]
	v_pk_add_f32 v[102:103], v[106:107], v[102:103]
	v_mov_b32_e32 v111, v91
	v_pk_fma_f32 v[112:113], v[60:61], s[22:23], v[100:101] neg_lo:[1,0,0] neg_hi:[1,0,0]
	v_pk_fma_f32 v[96:97], v[60:61], s[22:23], v[100:101]
	v_pk_add_f32 v[102:103], v[108:109], v[102:103]
	v_mov_b32_e32 v113, v97
	v_pk_add_f32 v[102:103], v[110:111], v[102:103]
	v_pk_mul_f32 v[108:109], v[98:99], s[44:45]
	s_mov_b32 s34, 0x3f6f5d39
	v_pk_add_f32 v[116:117], v[112:113], v[102:103]
	v_pk_fma_f32 v[118:119], v[2:3], s[18:19], v[108:109] neg_lo:[1,0,0] neg_hi:[1,0,0]
	v_pk_fma_f32 v[102:103], v[2:3], s[18:19], v[108:109]
	v_pk_mul_f32 v[112:113], v[88:89], s[42:43]
	s_mov_b32 s58, s7
	s_mov_b32 s59, s34
	v_mov_b32_e32 v119, v103
	v_pk_fma_f32 v[120:121], v[8:9], s[16:17], v[112:113] neg_lo:[1,0,0] neg_hi:[1,0,0]
	v_pk_fma_f32 v[104:105], v[8:9], s[16:17], v[112:113]
	s_mov_b32 s35, s7
	v_pk_mul_f32 v[122:123], v[82:83], s[58:59]
	v_mov_b32_e32 v121, v105
	v_pk_fma_f32 v[128:129], v[14:15], s[34:35], v[122:123] neg_lo:[1,0,0] neg_hi:[1,0,0]
	v_pk_fma_f32 v[106:107], v[14:15], s[34:35], v[122:123]
	v_pk_mul_f32 v[130:131], v[74:75], s[48:49]
	v_pk_add_f32 v[118:119], v[0:1], v[118:119]
	v_mov_b32_e32 v129, v107
	v_pk_fma_f32 v[132:133], v[20:21], s[22:23], v[130:131] neg_lo:[1,0,0] neg_hi:[1,0,0]
	v_pk_fma_f32 v[110:111], v[20:21], s[22:23], v[130:131]
	v_pk_mul_f32 v[134:135], v[78:79], s[38:39]
	v_pk_add_f32 v[118:119], v[120:121], v[118:119]
	;; [unrolled: 5-line block ×3, first 2 shown]
	v_mov_b32_e32 v137, v115
	v_pk_fma_f32 v[140:141], v[60:61], s[14:15], v[138:139] neg_lo:[1,0,0] neg_hi:[1,0,0]
	v_pk_fma_f32 v[142:143], v[60:61], s[14:15], v[138:139]
	v_pk_add_f32 v[118:119], v[132:133], v[118:119]
	v_mov_b32_e32 v141, v143
	v_pk_add_f32 v[118:119], v[136:137], v[118:119]
	v_pk_add_f32 v[118:119], v[140:141], v[118:119]
	ds_write2_b64 v126, v[116:117], v[118:119] offset0:2 offset1:3
	v_pk_mul_f32 v[116:117], v[98:99], s[36:37]
	v_pk_fma_f32 v[118:119], v[2:3], s[6:7], v[116:117] neg_lo:[1,0,0] neg_hi:[1,0,0]
	v_pk_fma_f32 v[120:121], v[2:3], s[6:7], v[116:117]
	v_pk_mul_f32 v[128:129], v[88:89], s[50:51]
	v_mov_b32_e32 v119, v121
	v_pk_fma_f32 v[132:133], v[8:9], s[24:25], v[128:129] neg_lo:[1,0,0] neg_hi:[1,0,0]
	v_pk_fma_f32 v[136:137], v[8:9], s[24:25], v[128:129]
	v_pk_mul_f32 v[140:141], v[82:83], s[48:49]
	s_mov_b32 s30, 0x3e750f2a
	v_mov_b32_e32 v133, v137
	v_pk_fma_f32 v[144:145], v[14:15], s[22:23], v[140:141] neg_lo:[1,0,0] neg_hi:[1,0,0]
	v_pk_fma_f32 v[146:147], v[14:15], s[22:23], v[140:141]
	v_pk_mul_f32 v[148:149], v[74:75], s[44:45]
	s_mov_b32 s56, s17
	s_mov_b32 s57, s30
	;; [unrolled: 1-line block ×3, first 2 shown]
	v_pk_add_f32 v[118:119], v[0:1], v[118:119]
	v_mov_b32_e32 v145, v147
	v_pk_fma_f32 v[150:151], v[20:21], s[18:19], v[148:149] neg_lo:[1,0,0] neg_hi:[1,0,0]
	v_pk_fma_f32 v[152:153], v[20:21], s[18:19], v[148:149]
	s_mov_b32 s31, s17
	v_pk_mul_f32 v[154:155], v[78:79], s[56:57]
	s_mov_b32 s54, s13
	s_mov_b32 s55, s28
	v_pk_add_f32 v[118:119], v[132:133], v[118:119]
	v_mov_b32_e32 v151, v153
	v_pk_fma_f32 v[156:157], v[26:27], s[30:31], v[154:155] neg_lo:[1,0,0] neg_hi:[1,0,0]
	v_pk_fma_f32 v[158:159], v[26:27], s[30:31], v[154:155]
	s_mov_b32 s29, s13
	v_pk_mul_f32 v[160:161], v[72:73], s[54:55]
	v_pk_add_f32 v[118:119], v[144:145], v[118:119]
	v_mov_b32_e32 v157, v159
	v_pk_fma_f32 v[162:163], v[60:61], s[28:29], v[160:161] neg_lo:[1,0,0] neg_hi:[1,0,0]
	v_pk_fma_f32 v[164:165], v[60:61], s[28:29], v[160:161]
	v_pk_add_f32 v[118:119], v[150:151], v[118:119]
	v_pk_mul_f32 v[132:133], v[98:99], s[40:41]
	v_mov_b32_e32 v163, v165
	v_pk_add_f32 v[118:119], v[156:157], v[118:119]
	v_pk_fma_f32 v[144:145], v[2:3], s[14:15], v[132:133] neg_lo:[1,0,0] neg_hi:[1,0,0]
	v_pk_fma_f32 v[150:151], v[2:3], s[14:15], v[132:133]
	v_pk_mul_f32 v[156:157], v[88:89], s[46:47]
	v_pk_add_f32 v[118:119], v[162:163], v[118:119]
	v_mov_b32_e32 v145, v151
	v_pk_fma_f32 v[162:163], v[8:9], s[20:21], v[156:157] neg_lo:[1,0,0] neg_hi:[1,0,0]
	v_pk_fma_f32 v[166:167], v[8:9], s[20:21], v[156:157]
	v_pk_mul_f32 v[168:169], v[82:83], s[38:39]
	v_mov_b32_e32 v163, v167
	v_pk_fma_f32 v[170:171], v[14:15], s[12:13], v[168:169] neg_lo:[1,0,0] neg_hi:[1,0,0]
	v_pk_fma_f32 v[172:173], v[14:15], s[12:13], v[168:169]
	v_pk_mul_f32 v[174:175], v[74:75], s[56:57]
	v_pk_add_f32 v[144:145], v[0:1], v[144:145]
	v_mov_b32_e32 v171, v173
	v_pk_fma_f32 v[176:177], v[20:21], s[30:31], v[174:175] neg_lo:[1,0,0] neg_hi:[1,0,0]
	v_pk_fma_f32 v[178:179], v[20:21], s[30:31], v[174:175]
	v_pk_mul_f32 v[180:181], v[78:79], s[48:49]
	v_pk_add_f32 v[144:145], v[162:163], v[144:145]
	;; [unrolled: 5-line block ×3, first 2 shown]
	v_mov_b32_e32 v183, v185
	v_pk_fma_f32 v[188:189], v[60:61], s[6:7], v[186:187] neg_lo:[1,0,0] neg_hi:[1,0,0]
	v_pk_fma_f32 v[190:191], v[60:61], s[6:7], v[186:187]
	v_pk_add_f32 v[144:145], v[176:177], v[144:145]
	v_mov_b32_e32 v189, v191
	v_pk_add_f32 v[144:145], v[182:183], v[144:145]
	v_pk_add_f32 v[144:145], v[188:189], v[144:145]
	v_pk_mul_f32 v[98:99], v[98:99], s[42:43]
	ds_write2_b64 v126, v[118:119], v[144:145] offset0:4 offset1:5
	v_pk_fma_f32 v[118:119], v[2:3], s[16:17], v[98:99] neg_lo:[1,0,0] neg_hi:[1,0,0]
	v_pk_fma_f32 v[144:145], v[2:3], s[16:17], v[98:99]
	v_pk_mul_f32 v[88:89], v[88:89], s[48:49]
	v_pk_mul_f32 v[72:73], v[72:73], s[46:47]
	v_pk_fma_f32 v[98:99], v[2:3], s[16:17], v[98:99] neg_lo:[0,0,1] neg_hi:[0,0,1]
	v_mov_b32_e32 v119, v145
	v_pk_fma_f32 v[162:163], v[8:9], s[22:23], v[88:89] neg_lo:[1,0,0] neg_hi:[1,0,0]
	v_pk_fma_f32 v[170:171], v[8:9], s[22:23], v[88:89]
	v_pk_mul_f32 v[82:83], v[82:83], s[40:41]
	v_pk_fma_f32 v[198:199], v[60:61], s[20:21], v[72:73] neg_lo:[1,0,0] neg_hi:[1,0,0]
	v_pk_fma_f32 v[200:201], v[60:61], s[20:21], v[72:73]
	v_mov_b32_e32 v145, v99
	v_pk_fma_f32 v[88:89], v[8:9], s[22:23], v[88:89] neg_lo:[0,0,1] neg_hi:[0,0,1]
	v_pk_fma_f32 v[72:73], v[60:61], s[20:21], v[72:73] neg_lo:[0,0,1] neg_hi:[0,0,1]
	v_mov_b32_e32 v163, v171
	v_pk_fma_f32 v[176:177], v[14:15], s[14:15], v[82:83] neg_lo:[1,0,0] neg_hi:[1,0,0]
	v_pk_fma_f32 v[182:183], v[14:15], s[14:15], v[82:83]
	v_pk_mul_f32 v[74:75], v[74:75], s[54:55]
	v_mov_b32_e32 v199, v201
	v_pk_add_f32 v[118:119], v[0:1], v[118:119]
	v_mov_b32_e32 v171, v89
	v_pk_fma_f32 v[82:83], v[14:15], s[14:15], v[82:83] neg_lo:[0,0,1] neg_hi:[0,0,1]
	v_mov_b32_e32 v201, v73
	v_pk_add_f32 v[72:73], v[0:1], v[144:145]
	v_mov_b32_e32 v177, v183
	v_pk_fma_f32 v[188:189], v[20:21], s[28:29], v[74:75] neg_lo:[1,0,0] neg_hi:[1,0,0]
	v_pk_fma_f32 v[192:193], v[20:21], s[28:29], v[74:75]
	v_pk_mul_f32 v[78:79], v[78:79], s[36:37]
	v_pk_add_f32 v[118:119], v[162:163], v[118:119]
	v_mov_b32_e32 v183, v83
	v_pk_fma_f32 v[74:75], v[20:21], s[28:29], v[74:75] neg_lo:[0,0,1] neg_hi:[0,0,1]
	v_pk_add_f32 v[72:73], v[170:171], v[72:73]
	v_mov_b32_e32 v189, v193
	v_pk_fma_f32 v[194:195], v[26:27], s[6:7], v[78:79] neg_lo:[1,0,0] neg_hi:[1,0,0]
	v_pk_fma_f32 v[196:197], v[26:27], s[6:7], v[78:79]
	v_pk_add_f32 v[118:119], v[176:177], v[118:119]
	v_mov_b32_e32 v193, v75
	v_pk_fma_f32 v[74:75], v[26:27], s[6:7], v[78:79] neg_lo:[0,0,1] neg_hi:[0,0,1]
	v_pk_add_f32 v[72:73], v[182:183], v[72:73]
	v_mov_b32_e32 v195, v197
	v_pk_add_f32 v[118:119], v[188:189], v[118:119]
	v_mov_b32_e32 v197, v75
	v_pk_add_f32 v[72:73], v[192:193], v[72:73]
	v_pk_add_f32 v[118:119], v[194:195], v[118:119]
	;; [unrolled: 1-line block ×5, first 2 shown]
	ds_write2_b64 v126, v[118:119], v[72:73] offset0:6 offset1:7
	v_pk_fma_f32 v[72:73], v[2:3], s[14:15], v[132:133] neg_lo:[0,0,1] neg_hi:[0,0,1]
	v_pk_fma_f32 v[74:75], v[2:3], s[6:7], v[116:117] neg_lo:[0,0,1] neg_hi:[0,0,1]
	v_mov_b32_e32 v151, v73
	v_pk_fma_f32 v[72:73], v[8:9], s[20:21], v[156:157] neg_lo:[0,0,1] neg_hi:[0,0,1]
	v_mov_b32_e32 v121, v75
	;; [unrolled: 2-line block ×11, first 2 shown]
	v_pk_add_f32 v[72:73], v[0:1], v[150:151]
	v_mov_b32_e32 v165, v75
	v_pk_add_f32 v[74:75], v[0:1], v[120:121]
	v_pk_add_f32 v[72:73], v[166:167], v[72:73]
	;; [unrolled: 1-line block ×11, first 2 shown]
	ds_write2_b64 v126, v[72:73], v[74:75] offset0:8 offset1:9
	v_pk_fma_f32 v[72:73], v[2:3], s[18:19], v[108:109] neg_lo:[0,0,1] neg_hi:[0,0,1]
	v_mov_b32_e32 v103, v73
	v_pk_fma_f32 v[72:73], v[8:9], s[16:17], v[112:113] neg_lo:[0,0,1] neg_hi:[0,0,1]
	v_mov_b32_e32 v105, v73
	;; [unrolled: 2-line block ×4, first 2 shown]
	v_pk_fma_f32 v[72:73], v[26:27], s[12:13], v[134:135] neg_lo:[0,0,1] neg_hi:[0,0,1]
	v_pk_fma_f32 v[74:75], v[2:3], s[12:13], v[76:77] neg_lo:[0,0,1] neg_hi:[0,0,1]
	;; [unrolled: 1-line block ×3, first 2 shown]
	v_mov_b32_e32 v115, v73
	v_pk_fma_f32 v[72:73], v[60:61], s[14:15], v[138:139] neg_lo:[0,0,1] neg_hi:[0,0,1]
	v_mov_b32_e32 v67, v75
	v_mov_b32_e32 v5, v3
	v_pk_fma_f32 v[2:3], v[8:9], s[12:13], v[12:13] neg_lo:[0,0,1] neg_hi:[0,0,1]
	v_mov_b32_e32 v143, v73
	v_pk_add_f32 v[72:73], v[0:1], v[102:103]
	v_pk_add_f32 v[66:67], v[0:1], v[66:67]
	;; [unrolled: 1-line block ×3, first 2 shown]
	v_mov_b32_e32 v11, v3
	v_pk_fma_f32 v[2:3], v[14:15], s[18:19], v[18:19] neg_lo:[0,0,1] neg_hi:[0,0,1]
	v_pk_fma_f32 v[74:75], v[8:9], s[6:7], v[84:85] neg_lo:[0,0,1] neg_hi:[0,0,1]
	v_pk_add_f32 v[0:1], v[10:11], v[0:1]
	v_mov_b32_e32 v17, v3
	v_pk_fma_f32 v[2:3], v[20:21], s[6:7], v[24:25] neg_lo:[0,0,1] neg_hi:[0,0,1]
	v_mov_b32_e32 v69, v75
	v_pk_fma_f32 v[74:75], v[14:15], s[16:17], v[86:87] neg_lo:[0,0,1] neg_hi:[0,0,1]
	v_pk_add_f32 v[0:1], v[16:17], v[0:1]
	v_mov_b32_e32 v23, v3
	v_pk_fma_f32 v[2:3], v[26:27], s[14:15], v[58:59] neg_lo:[0,0,1] neg_hi:[0,0,1]
	v_pk_add_f32 v[72:73], v[104:105], v[72:73]
	;; [unrolled: 3-line block ×3, first 2 shown]
	v_pk_add_f32 v[0:1], v[22:23], v[0:1]
	v_mov_b32_e32 v57, v3
	v_pk_fma_f32 v[2:3], v[60:61], s[16:17], v[64:65] neg_lo:[0,0,1] neg_hi:[0,0,1]
	v_pk_add_f32 v[72:73], v[106:107], v[72:73]
	v_mov_b32_e32 v81, v75
	v_pk_fma_f32 v[74:75], v[26:27], s[20:21], v[94:95] neg_lo:[0,0,1] neg_hi:[0,0,1]
	v_pk_add_f32 v[66:67], v[70:71], v[66:67]
	v_pk_add_f32 v[0:1], v[56:57], v[0:1]
	v_mov_b32_e32 v63, v3
	v_pk_add_f32 v[72:73], v[110:111], v[72:73]
	v_mov_b32_e32 v91, v75
	v_pk_fma_f32 v[74:75], v[60:61], s[22:23], v[100:101] neg_lo:[0,0,1] neg_hi:[0,0,1]
	v_pk_add_f32 v[66:67], v[80:81], v[66:67]
	v_pk_add_f32 v[0:1], v[62:63], v[0:1]
	;; [unrolled: 1-line block ×3, first 2 shown]
	v_mov_b32_e32 v97, v75
	v_pk_add_f32 v[66:67], v[90:91], v[66:67]
	ds_write_b64 v126, v[0:1] offset:96
	v_mul_u32_u24_e32 v0, 12, v125
	v_pk_add_f32 v[72:73], v[142:143], v[72:73]
	v_pk_add_f32 v[66:67], v[96:97], v[66:67]
	v_lshlrev_b32_e32 v16, 3, v0
	ds_write2_b64 v126, v[72:73], v[66:67] offset0:10 offset1:11
	s_waitcnt lgkmcnt(0)
	s_barrier
	global_load_dwordx4 v[4:7], v16, s[10:11]
	global_load_dwordx4 v[0:3], v16, s[10:11] offset:16
	global_load_dwordx4 v[12:15], v16, s[10:11] offset:32
	;; [unrolled: 1-line block ×4, first 2 shown]
	s_nop 0
	global_load_dwordx4 v[16:19], v16, s[10:11] offset:80
	ds_read2_b64 v[24:27], v124 offset1:13
	ds_read2_b64 v[58:61], v124 offset0:52 offset1:65
	ds_read2_b64 v[62:65], v124 offset0:26 offset1:39
	s_mov_b32 s10, s27
	s_load_dwordx2 s[4:5], s[4:5], 0x38
	s_waitcnt vmcnt(5) lgkmcnt(0)
	v_pk_mul_f32 v[56:57], v[26:27], v[4:5]
	v_mov_b32_e32 v56, v57
	v_mov_b32_e32 v66, v5
	v_pk_fma_f32 v[74:75], v[26:27], v[4:5], v[56:57] neg_lo:[0,0,1] neg_hi:[0,0,1]
	v_mov_b32_e32 v56, v27
	v_pk_mul_f32 v[26:27], v[26:27], v[66:67]
	v_pk_fma_f32 v[76:77], v[56:57], v[4:5], v[26:27]
	v_pk_mul_f32 v[26:27], v[62:63], v[6:7]
	v_mov_b32_e32 v26, v27
	v_mov_b32_e32 v56, v7
	v_pk_fma_f32 v[78:79], v[62:63], v[6:7], v[26:27] neg_lo:[0,0,1] neg_hi:[0,0,1]
	v_mov_b32_e32 v26, v63
	v_pk_mul_f32 v[56:57], v[62:63], v[56:57]
	v_pk_fma_f32 v[80:81], v[26:27], v[6:7], v[56:57]
	s_waitcnt vmcnt(4)
	v_pk_mul_f32 v[26:27], v[64:65], v[0:1]
	v_mov_b32_e32 v26, v27
	v_mov_b32_e32 v56, v1
	v_pk_fma_f32 v[82:83], v[64:65], v[0:1], v[26:27] neg_lo:[0,0,1] neg_hi:[0,0,1]
	v_mov_b32_e32 v26, v65
	v_pk_mul_f32 v[56:57], v[64:65], v[56:57]
	v_pk_fma_f32 v[84:85], v[26:27], v[0:1], v[56:57]
	v_mov_b32_e32 v56, v3
	v_pk_mul_f32 v[86:87], v[58:59], v[56:57] op_sel_hi:[1,0]
	v_pk_fma_f32 v[88:89], v[58:59], v[2:3], v[86:87] op_sel:[0,0,1] op_sel_hi:[1,1,0] neg_lo:[0,0,1] neg_hi:[0,0,1]
	v_pk_fma_f32 v[58:59], v[58:59], v[2:3], v[86:87] op_sel:[0,0,1] op_sel_hi:[1,0,0]
	v_mov_b32_e32 v89, v59
	s_waitcnt vmcnt(3)
	v_pk_mul_f32 v[58:59], v[60:61], v[12:13] op_sel:[0,1]
	ds_read2_b64 v[62:65], v124 offset0:78 offset1:91
	ds_read2_b64 v[66:69], v124 offset0:104 offset1:117
	ds_read2_b64 v[70:73], v124 offset0:130 offset1:143
	ds_read_b64 v[26:27], v124 offset:1248
	v_pk_fma_f32 v[86:87], v[60:61], v[12:13], v[58:59] op_sel:[0,0,1] op_sel_hi:[1,1,0] neg_lo:[0,0,1] neg_hi:[0,0,1]
	v_pk_fma_f32 v[58:59], v[60:61], v[12:13], v[58:59] op_sel:[0,0,1] op_sel_hi:[1,0,0]
	v_mov_b32_e32 v58, v15
	s_waitcnt lgkmcnt(3)
	v_pk_mul_f32 v[60:61], v[62:63], v[58:59] op_sel_hi:[1,0]
	v_pk_fma_f32 v[90:91], v[62:63], v[14:15], v[60:61] op_sel:[0,0,1] op_sel_hi:[1,1,0] neg_lo:[0,0,1] neg_hi:[0,0,1]
	v_pk_fma_f32 v[60:61], v[62:63], v[14:15], v[60:61] op_sel:[0,0,1] op_sel_hi:[1,0,0]
	v_mov_b32_e32 v91, v61
	s_waitcnt vmcnt(2)
	v_pk_mul_f32 v[60:61], v[64:65], v[8:9] op_sel:[0,1]
	v_pk_fma_f32 v[92:93], v[64:65], v[8:9], v[60:61] op_sel:[0,0,1] op_sel_hi:[1,1,0] neg_lo:[0,0,1] neg_hi:[0,0,1]
	v_pk_fma_f32 v[60:61], v[64:65], v[8:9], v[60:61] op_sel:[0,0,1] op_sel_hi:[1,0,0]
	v_mov_b32_e32 v60, v11
	s_waitcnt lgkmcnt(2)
	v_pk_mul_f32 v[62:63], v[66:67], v[60:61] op_sel_hi:[1,0]
	v_pk_fma_f32 v[94:95], v[66:67], v[10:11], v[62:63] op_sel:[0,0,1] op_sel_hi:[1,1,0] neg_lo:[0,0,1] neg_hi:[0,0,1]
	v_pk_fma_f32 v[62:63], v[66:67], v[10:11], v[62:63] op_sel:[0,0,1] op_sel_hi:[1,0,0]
	v_mov_b32_e32 v95, v63
	s_waitcnt vmcnt(1)
	v_pk_mul_f32 v[62:63], v[68:69], v[20:21] op_sel:[0,1]
	v_pk_fma_f32 v[96:97], v[68:69], v[20:21], v[62:63] op_sel:[0,0,1] op_sel_hi:[1,1,0] neg_lo:[0,0,1] neg_hi:[0,0,1]
	v_pk_fma_f32 v[62:63], v[68:69], v[20:21], v[62:63] op_sel:[0,0,1] op_sel_hi:[1,0,0]
	v_mov_b32_e32 v62, v23
	s_waitcnt lgkmcnt(1)
	v_pk_mul_f32 v[64:65], v[70:71], v[62:63] op_sel_hi:[1,0]
	v_pk_fma_f32 v[98:99], v[70:71], v[22:23], v[64:65] op_sel:[0,0,1] op_sel_hi:[1,0,0] neg_lo:[0,0,1] neg_hi:[0,0,1]
	v_pk_fma_f32 v[70:71], v[70:71], v[22:23], v[64:65] op_sel:[0,0,1] op_sel_hi:[1,0,0]
	s_waitcnt vmcnt(0)
	v_pk_mul_f32 v[64:65], v[72:73], v[16:17] op_sel:[0,1]
	v_pk_fma_f32 v[68:69], v[72:73], v[16:17], v[64:65] op_sel:[0,0,1] op_sel_hi:[1,0,0] neg_lo:[0,0,1] neg_hi:[0,0,1]
	v_pk_fma_f32 v[72:73], v[72:73], v[16:17], v[64:65] op_sel:[0,0,1] op_sel_hi:[1,0,0]
	v_mov_b32_e32 v64, v19
	s_waitcnt lgkmcnt(0)
	v_pk_mul_f32 v[66:67], v[26:27], v[64:65] op_sel_hi:[1,0]
	v_pk_fma_f32 v[104:105], v[26:27], v[18:19], v[66:67] op_sel:[0,0,1] op_sel_hi:[1,0,0] neg_lo:[0,0,1] neg_hi:[0,0,1]
	v_pk_fma_f32 v[66:67], v[26:27], v[18:19], v[66:67] op_sel:[0,0,1] op_sel_hi:[1,0,0]
	v_mov_b32_e32 v3, v76
	v_pk_add_f32 v[26:27], v[2:3], v[66:67]
	v_mov_b32_e32 v26, v67
	v_mov_b32_e32 v11, v80
	;; [unrolled: 1-line block ×3, first 2 shown]
	v_pk_add_f32 v[130:131], v[76:77], v[26:27] neg_lo:[0,1] neg_hi:[0,1]
	v_pk_add_f32 v[66:67], v[10:11], v[72:73]
	v_mov_b32_e32 v26, v73
	v_mov_b32_e32 v11, v84
	;; [unrolled: 1-line block ×5, first 2 shown]
	v_pk_add_f32 v[132:133], v[78:79], v[68:69]
	v_pk_add_f32 v[76:77], v[78:79], v[68:69] neg_lo:[0,1] neg_hi:[0,1]
	v_pk_add_f32 v[134:135], v[80:81], v[26:27] neg_lo:[0,1] neg_hi:[0,1]
	v_pk_add_f32 v[68:69], v[10:11], v[70:71]
	v_mov_b32_e32 v26, v71
	v_pk_add_f32 v[70:71], v[24:25], v[74:75]
	v_pk_add_f32 v[72:73], v[24:25], v[2:3]
	v_mov_b32_e32 v108, v78
	v_mov_b32_e32 v109, v80
	;; [unrolled: 1-line block ×5, first 2 shown]
	v_pk_add_f32 v[70:71], v[70:71], v[108:109]
	v_pk_add_f32 v[70:71], v[70:71], v[110:111]
	v_mov_b32_e32 v87, v59
	v_pk_add_f32 v[70:71], v[70:71], v[88:89]
	v_pk_add_f32 v[70:71], v[70:71], v[86:87]
	v_mov_b32_e32 v93, v61
	;; [unrolled: 3-line block ×3, first 2 shown]
	v_pk_add_f32 v[70:71], v[70:71], v[94:95]
	v_mov_b32_e32 v100, v98
	v_mov_b32_e32 v106, v104
	v_pk_add_f32 v[128:129], v[74:75], v[104:105]
	v_pk_add_f32 v[104:105], v[74:75], v[104:105] neg_lo:[0,1] neg_hi:[0,1]
	v_pk_add_f32 v[70:71], v[70:71], v[96:97]
	v_pk_add_f32 v[70:71], v[70:71], v[100:101]
	v_mov_b32_e32 v129, v104
	v_pk_add_f32 v[138:139], v[84:85], v[26:27] neg_lo:[0,1] neg_hi:[0,1]
	v_pk_add_f32 v[70:71], v[70:71], v[102:103]
	v_mov_b32_e32 v26, v130
	v_pk_mul_f32 v[72:73], v[128:129], s[52:53]
	v_pk_add_f32 v[100:101], v[70:71], v[106:107]
	v_pk_fma_f32 v[74:75], v[130:131], s[26:27], v[72:73] neg_lo:[1,0,0] neg_hi:[1,0,0]
	v_pk_fma_f32 v[70:71], v[26:27], s[26:27], v[72:73]
	v_mov_b32_e32 v133, v76
	v_mov_b32_e32 v75, v71
	v_mov_b32_e32 v66, v134
	v_pk_mul_f32 v[76:77], v[132:133], s[38:39]
	v_pk_add_f32 v[136:137], v[82:83], v[98:99]
	v_pk_add_f32 v[78:79], v[82:83], v[98:99] neg_lo:[0,1] neg_hi:[0,1]
	v_pk_add_f32 v[80:81], v[24:25], v[74:75]
	v_pk_fma_f32 v[82:83], v[134:135], s[12:13], v[76:77] neg_lo:[1,0,0] neg_hi:[1,0,0]
	v_pk_fma_f32 v[74:75], v[66:67], s[12:13], v[76:77]
	v_mov_b32_e32 v83, v75
	v_mov_b32_e32 v137, v78
	v_pk_add_f32 v[82:83], v[82:83], v[80:81]
	v_mov_b32_e32 v68, v138
	v_pk_mul_f32 v[80:81], v[136:137], s[44:45]
	v_pk_add_f32 v[142:143], v[86:87], v[94:95]
	v_pk_add_f32 v[98:99], v[86:87], v[94:95] neg_lo:[0,1] neg_hi:[0,1]
	v_pk_fma_f32 v[86:87], v[138:139], s[18:19], v[80:81] neg_lo:[1,0,0] neg_hi:[1,0,0]
	v_pk_fma_f32 v[78:79], v[68:69], s[18:19], v[80:81]
	v_pk_add_f32 v[140:141], v[88:89], v[96:97]
	v_pk_add_f32 v[84:85], v[88:89], v[96:97] neg_lo:[0,1] neg_hi:[0,1]
	v_mov_b32_e32 v87, v79
	v_pk_add_f32 v[88:89], v[86:87], v[82:83]
	v_mov_b32_e32 v83, v141
	v_mov_b32_e32 v141, v84
	;; [unrolled: 1-line block ×3, first 2 shown]
	v_pk_mul_f32 v[86:87], v[140:141], s[36:37]
	v_pk_add_f32 v[144:145], v[90:91], v[92:93]
	v_pk_add_f32 v[112:113], v[90:91], v[92:93] neg_lo:[0,1] neg_hi:[0,1]
	v_pk_fma_f32 v[90:91], v[82:83], s[6:7], v[86:87] neg_lo:[1,0,0] neg_hi:[1,0,0]
	v_pk_fma_f32 v[84:85], v[82:83], s[6:7], v[86:87]
	v_mov_b32_e32 v91, v85
	v_pk_add_f32 v[94:95], v[90:91], v[88:89]
	v_mov_b32_e32 v89, v143
	v_mov_b32_e32 v143, v98
	;; [unrolled: 1-line block ×3, first 2 shown]
	v_pk_mul_f32 v[92:93], v[142:143], s[40:41]
	v_pk_fma_f32 v[96:97], v[88:89], s[14:15], v[92:93] neg_lo:[1,0,0] neg_hi:[1,0,0]
	v_pk_fma_f32 v[90:91], v[88:89], s[14:15], v[92:93]
	v_mov_b32_e32 v97, v91
	v_pk_add_f32 v[102:103], v[96:97], v[94:95]
	v_mov_b32_e32 v95, v145
	v_mov_b32_e32 v145, v112
	v_mov_b32_e32 v94, v113
	v_pk_mul_f32 v[98:99], v[144:145], s[42:43]
	v_pk_fma_f32 v[104:105], v[94:95], s[16:17], v[98:99] neg_lo:[1,0,0] neg_hi:[1,0,0]
	v_pk_fma_f32 v[96:97], v[94:95], s[16:17], v[98:99]
	v_mov_b32_e32 v105, v97
	v_pk_add_f32 v[102:103], v[104:105], v[102:103]
	v_pk_mul_f32 v[108:109], v[128:129], s[38:39]
	ds_write2_b64 v124, v[100:101], v[102:103] offset1:13
	v_pk_fma_f32 v[146:147], v[130:131], s[12:13], v[108:109] neg_lo:[1,0,0] neg_hi:[1,0,0]
	v_pk_fma_f32 v[100:101], v[26:27], s[12:13], v[108:109]
	v_pk_mul_f32 v[112:113], v[132:133], s[36:37]
	v_mov_b32_e32 v147, v101
	v_pk_fma_f32 v[148:149], v[134:135], s[6:7], v[112:113] neg_lo:[1,0,0] neg_hi:[1,0,0]
	v_pk_fma_f32 v[102:103], v[66:67], s[6:7], v[112:113]
	v_pk_mul_f32 v[114:115], v[136:137], s[42:43]
	v_mov_b32_e32 v149, v103
	v_pk_fma_f32 v[150:151], v[138:139], s[16:17], v[114:115] neg_lo:[1,0,0] neg_hi:[1,0,0]
	v_pk_fma_f32 v[104:105], v[68:69], s[16:17], v[114:115]
	v_pk_mul_f32 v[118:119], v[140:141], s[50:51]
	v_pk_add_f32 v[146:147], v[24:25], v[146:147]
	v_mov_b32_e32 v151, v105
	v_pk_fma_f32 v[152:153], v[82:83], s[24:25], v[118:119] neg_lo:[1,0,0] neg_hi:[1,0,0]
	v_pk_fma_f32 v[106:107], v[82:83], s[24:25], v[118:119]
	v_pk_mul_f32 v[120:121], v[142:143], s[46:47]
	v_pk_add_f32 v[146:147], v[148:149], v[146:147]
	;; [unrolled: 5-line block ×3, first 2 shown]
	v_mov_b32_e32 v155, v111
	v_pk_fma_f32 v[156:157], v[94:95], s[22:23], v[122:123] neg_lo:[1,0,0] neg_hi:[1,0,0]
	v_pk_fma_f32 v[116:117], v[94:95], s[22:23], v[122:123]
	v_pk_add_f32 v[146:147], v[152:153], v[146:147]
	v_pk_mul_f32 v[148:149], v[128:129], s[44:45]
	v_mov_b32_e32 v157, v117
	v_pk_add_f32 v[146:147], v[154:155], v[146:147]
	v_pk_fma_f32 v[150:151], v[130:131], s[18:19], v[148:149] neg_lo:[1,0,0] neg_hi:[1,0,0]
	v_pk_fma_f32 v[152:153], v[26:27], s[18:19], v[148:149]
	v_pk_mul_f32 v[154:155], v[132:133], s[42:43]
	v_pk_add_f32 v[146:147], v[156:157], v[146:147]
	v_mov_b32_e32 v151, v153
	v_pk_fma_f32 v[156:157], v[134:135], s[16:17], v[154:155] neg_lo:[1,0,0] neg_hi:[1,0,0]
	v_pk_fma_f32 v[158:159], v[66:67], s[16:17], v[154:155]
	v_pk_mul_f32 v[160:161], v[136:137], s[58:59]
	v_mov_b32_e32 v157, v159
	v_pk_fma_f32 v[162:163], v[138:139], s[34:35], v[160:161] neg_lo:[1,0,0] neg_hi:[1,0,0]
	v_pk_fma_f32 v[164:165], v[68:69], s[34:35], v[160:161]
	v_pk_mul_f32 v[166:167], v[140:141], s[48:49]
	v_pk_add_f32 v[150:151], v[24:25], v[150:151]
	v_mov_b32_e32 v163, v165
	v_pk_fma_f32 v[168:169], v[82:83], s[22:23], v[166:167] neg_lo:[1,0,0] neg_hi:[1,0,0]
	v_pk_fma_f32 v[170:171], v[82:83], s[22:23], v[166:167]
	v_pk_mul_f32 v[172:173], v[142:143], s[38:39]
	v_pk_add_f32 v[150:151], v[156:157], v[150:151]
	v_mov_b32_e32 v169, v171
	v_pk_fma_f32 v[174:175], v[88:89], s[12:13], v[172:173] neg_lo:[1,0,0] neg_hi:[1,0,0]
	v_pk_fma_f32 v[176:177], v[88:89], s[12:13], v[172:173]
	v_pk_mul_f32 v[178:179], v[144:145], s[40:41]
	v_pk_add_f32 v[150:151], v[162:163], v[150:151]
	v_mov_b32_e32 v175, v177
	v_pk_fma_f32 v[180:181], v[94:95], s[14:15], v[178:179] neg_lo:[1,0,0] neg_hi:[1,0,0]
	v_pk_fma_f32 v[182:183], v[94:95], s[14:15], v[178:179]
	v_pk_add_f32 v[150:151], v[168:169], v[150:151]
	v_mov_b32_e32 v181, v183
	v_pk_add_f32 v[150:151], v[174:175], v[150:151]
	v_pk_add_f32 v[150:151], v[180:181], v[150:151]
	ds_write2_b64 v124, v[146:147], v[150:151] offset0:26 offset1:39
	v_pk_mul_f32 v[146:147], v[128:129], s[36:37]
	v_pk_fma_f32 v[150:151], v[130:131], s[6:7], v[146:147] neg_lo:[1,0,0] neg_hi:[1,0,0]
	v_pk_fma_f32 v[156:157], v[26:27], s[6:7], v[146:147]
	v_pk_mul_f32 v[162:163], v[132:133], s[50:51]
	v_mov_b32_e32 v151, v157
	v_pk_fma_f32 v[168:169], v[134:135], s[24:25], v[162:163] neg_lo:[1,0,0] neg_hi:[1,0,0]
	v_pk_fma_f32 v[174:175], v[66:67], s[24:25], v[162:163]
	v_pk_mul_f32 v[180:181], v[136:137], s[48:49]
	v_mov_b32_e32 v169, v175
	v_pk_fma_f32 v[184:185], v[138:139], s[22:23], v[180:181] neg_lo:[1,0,0] neg_hi:[1,0,0]
	v_pk_fma_f32 v[186:187], v[68:69], s[22:23], v[180:181]
	v_pk_mul_f32 v[188:189], v[140:141], s[44:45]
	v_pk_add_f32 v[150:151], v[24:25], v[150:151]
	v_mov_b32_e32 v185, v187
	v_pk_fma_f32 v[190:191], v[82:83], s[18:19], v[188:189] neg_lo:[1,0,0] neg_hi:[1,0,0]
	v_pk_fma_f32 v[192:193], v[82:83], s[18:19], v[188:189]
	v_pk_mul_f32 v[194:195], v[142:143], s[56:57]
	v_pk_add_f32 v[150:151], v[168:169], v[150:151]
	;; [unrolled: 5-line block ×3, first 2 shown]
	v_mov_b32_e32 v197, v199
	v_pk_fma_f32 v[202:203], v[94:95], s[28:29], v[200:201] neg_lo:[1,0,0] neg_hi:[1,0,0]
	v_pk_fma_f32 v[204:205], v[94:95], s[28:29], v[200:201]
	v_pk_add_f32 v[150:151], v[190:191], v[150:151]
	v_pk_mul_f32 v[168:169], v[128:129], s[40:41]
	v_mov_b32_e32 v203, v205
	v_pk_add_f32 v[150:151], v[196:197], v[150:151]
	v_pk_fma_f32 v[184:185], v[130:131], s[14:15], v[168:169] neg_lo:[1,0,0] neg_hi:[1,0,0]
	v_pk_fma_f32 v[190:191], v[26:27], s[14:15], v[168:169]
	v_pk_mul_f32 v[196:197], v[132:133], s[46:47]
	v_pk_add_f32 v[150:151], v[202:203], v[150:151]
	v_mov_b32_e32 v185, v191
	v_pk_fma_f32 v[202:203], v[134:135], s[20:21], v[196:197] neg_lo:[1,0,0] neg_hi:[1,0,0]
	v_pk_fma_f32 v[206:207], v[66:67], s[20:21], v[196:197]
	v_pk_mul_f32 v[208:209], v[136:137], s[38:39]
	v_mov_b32_e32 v203, v207
	v_pk_fma_f32 v[210:211], v[138:139], s[12:13], v[208:209] neg_lo:[1,0,0] neg_hi:[1,0,0]
	v_pk_fma_f32 v[212:213], v[68:69], s[12:13], v[208:209]
	v_pk_mul_f32 v[214:215], v[140:141], s[56:57]
	v_pk_add_f32 v[184:185], v[24:25], v[184:185]
	v_mov_b32_e32 v211, v213
	v_pk_fma_f32 v[216:217], v[82:83], s[30:31], v[214:215] neg_lo:[1,0,0] neg_hi:[1,0,0]
	v_pk_fma_f32 v[218:219], v[82:83], s[30:31], v[214:215]
	v_pk_mul_f32 v[220:221], v[142:143], s[48:49]
	v_pk_add_f32 v[184:185], v[202:203], v[184:185]
	;; [unrolled: 5-line block ×3, first 2 shown]
	v_mov_b32_e32 v223, v225
	v_pk_fma_f32 v[228:229], v[94:95], s[6:7], v[226:227] neg_lo:[1,0,0] neg_hi:[1,0,0]
	v_pk_fma_f32 v[230:231], v[94:95], s[6:7], v[226:227]
	v_pk_add_f32 v[184:185], v[216:217], v[184:185]
	v_mov_b32_e32 v229, v231
	v_pk_add_f32 v[184:185], v[222:223], v[184:185]
	v_pk_add_f32 v[184:185], v[228:229], v[184:185]
	v_pk_mul_f32 v[128:129], v[128:129], s[42:43]
	ds_write2_b64 v124, v[150:151], v[184:185] offset0:52 offset1:65
	v_pk_fma_f32 v[130:131], v[130:131], s[16:17], v[128:129] neg_lo:[1,0,0] neg_hi:[1,0,0]
	v_pk_fma_f32 v[150:151], v[26:27], s[16:17], v[128:129]
	v_pk_mul_f32 v[132:133], v[132:133], s[48:49]
	v_pk_fma_f32 v[128:129], v[26:27], s[16:17], v[128:129] neg_lo:[0,0,1] neg_hi:[0,0,1]
	v_mov_b32_e32 v131, v151
	v_pk_fma_f32 v[134:135], v[134:135], s[22:23], v[132:133] neg_lo:[1,0,0] neg_hi:[1,0,0]
	v_pk_fma_f32 v[184:185], v[66:67], s[22:23], v[132:133]
	v_pk_mul_f32 v[136:137], v[136:137], s[40:41]
	v_mov_b32_e32 v151, v129
	v_pk_fma_f32 v[128:129], v[66:67], s[22:23], v[132:133] neg_lo:[0,0,1] neg_hi:[0,0,1]
	v_mov_b32_e32 v135, v185
	v_pk_fma_f32 v[138:139], v[138:139], s[14:15], v[136:137] neg_lo:[1,0,0] neg_hi:[1,0,0]
	v_pk_fma_f32 v[202:203], v[68:69], s[14:15], v[136:137]
	v_pk_mul_f32 v[140:141], v[140:141], s[54:55]
	v_mov_b32_e32 v185, v129
	;; [unrolled: 6-line block ×4, first 2 shown]
	v_pk_fma_f32 v[128:129], v[88:89], s[6:7], v[142:143] neg_lo:[0,0,1] neg_hi:[0,0,1]
	v_mov_b32_e32 v223, v229
	v_pk_fma_f32 v[232:233], v[94:95], s[20:21], v[144:145] neg_lo:[1,0,0] neg_hi:[1,0,0]
	v_pk_fma_f32 v[234:235], v[94:95], s[20:21], v[144:145]
	v_mov_b32_e32 v229, v129
	v_pk_fma_f32 v[128:129], v[94:95], s[20:21], v[144:145] neg_lo:[0,0,1] neg_hi:[0,0,1]
	v_mov_b32_e32 v233, v235
	v_pk_add_f32 v[130:131], v[24:25], v[130:131]
	v_mov_b32_e32 v235, v129
	v_pk_add_f32 v[128:129], v[24:25], v[150:151]
	v_pk_add_f32 v[130:131], v[134:135], v[130:131]
	;; [unrolled: 1-line block ×11, first 2 shown]
	ds_write2_b64 v124, v[130:131], v[128:129] offset0:78 offset1:91
	v_pk_fma_f32 v[128:129], v[26:27], s[14:15], v[168:169] neg_lo:[0,0,1] neg_hi:[0,0,1]
	v_pk_fma_f32 v[130:131], v[26:27], s[6:7], v[146:147] neg_lo:[0,0,1] neg_hi:[0,0,1]
	v_mov_b32_e32 v191, v129
	v_pk_fma_f32 v[128:129], v[66:67], s[20:21], v[196:197] neg_lo:[0,0,1] neg_hi:[0,0,1]
	v_mov_b32_e32 v157, v131
	;; [unrolled: 2-line block ×11, first 2 shown]
	v_pk_add_f32 v[128:129], v[24:25], v[190:191]
	v_mov_b32_e32 v205, v131
	v_pk_add_f32 v[130:131], v[24:25], v[156:157]
	v_pk_add_f32 v[128:129], v[206:207], v[128:129]
	;; [unrolled: 1-line block ×11, first 2 shown]
	ds_write2_b64 v124, v[128:129], v[130:131] offset0:104 offset1:117
	v_pk_fma_f32 v[128:129], v[26:27], s[18:19], v[148:149] neg_lo:[0,0,1] neg_hi:[0,0,1]
	v_mov_b32_e32 v153, v129
	v_pk_fma_f32 v[128:129], v[66:67], s[16:17], v[154:155] neg_lo:[0,0,1] neg_hi:[0,0,1]
	v_mov_b32_e32 v159, v129
	;; [unrolled: 2-line block ×4, first 2 shown]
	v_pk_fma_f32 v[128:129], v[88:89], s[12:13], v[172:173] neg_lo:[0,0,1] neg_hi:[0,0,1]
	v_pk_fma_f32 v[108:109], v[26:27], s[12:13], v[108:109] neg_lo:[0,0,1] neg_hi:[0,0,1]
	;; [unrolled: 1-line block ×3, first 2 shown]
	v_mov_b32_e32 v177, v129
	v_pk_fma_f32 v[128:129], v[94:95], s[14:15], v[178:179] neg_lo:[0,0,1] neg_hi:[0,0,1]
	v_mov_b32_e32 v101, v109
	v_pk_fma_f32 v[108:109], v[66:67], s[6:7], v[112:113] neg_lo:[0,0,1] neg_hi:[0,0,1]
	v_mov_b32_e32 v71, v27
	v_pk_fma_f32 v[26:27], v[66:67], s[12:13], v[76:77] neg_lo:[0,0,1] neg_hi:[0,0,1]
	v_mov_b32_e32 v183, v129
	v_pk_add_f32 v[128:129], v[24:25], v[152:153]
	v_mov_b32_e32 v103, v109
	v_pk_fma_f32 v[108:109], v[68:69], s[16:17], v[114:115] neg_lo:[0,0,1] neg_hi:[0,0,1]
	v_pk_add_f32 v[100:101], v[24:25], v[100:101]
	v_pk_add_f32 v[24:25], v[24:25], v[70:71]
	v_mov_b32_e32 v75, v27
	v_pk_fma_f32 v[26:27], v[68:69], s[18:19], v[80:81] neg_lo:[0,0,1] neg_hi:[0,0,1]
	v_pk_add_f32 v[128:129], v[158:159], v[128:129]
	v_mov_b32_e32 v105, v109
	v_pk_fma_f32 v[108:109], v[82:83], s[24:25], v[118:119] neg_lo:[0,0,1] neg_hi:[0,0,1]
	v_pk_add_f32 v[100:101], v[102:103], v[100:101]
	v_pk_add_f32 v[24:25], v[74:75], v[24:25]
	v_mov_b32_e32 v79, v27
	v_pk_fma_f32 v[26:27], v[82:83], s[6:7], v[86:87] neg_lo:[0,0,1] neg_hi:[0,0,1]
	;; [unrolled: 7-line block ×4, first 2 shown]
	v_pk_add_f32 v[128:129], v[176:177], v[128:129]
	v_mov_b32_e32 v117, v109
	v_pk_add_f32 v[100:101], v[110:111], v[100:101]
	v_pk_add_f32 v[24:25], v[90:91], v[24:25]
	v_mov_b32_e32 v97, v27
	v_pk_add_f32 v[128:129], v[182:183], v[128:129]
	v_pk_add_f32 v[100:101], v[116:117], v[100:101]
	;; [unrolled: 1-line block ×3, first 2 shown]
	ds_write2_b64 v124, v[128:129], v[100:101] offset0:130 offset1:143
	ds_write_b64 v124, v[24:25] offset:1248
	s_waitcnt lgkmcnt(0)
	s_barrier
	global_load_dwordx2 v[68:69], v127, s[8:9] offset:1352
	s_add_u32 s8, s8, 0x548
	s_addc_u32 s9, s9, 0
	global_load_dwordx2 v[72:73], v127, s[8:9] offset:104
	global_load_dwordx2 v[74:75], v127, s[8:9] offset:208
	;; [unrolled: 1-line block ×12, first 2 shown]
	ds_read2_b64 v[24:27], v124 offset1:13
	v_mad_u64_u32 v[66:67], s[8:9], s2, v36, 0
	s_mov_b32 s8, s13
	s_mov_b32 s2, s19
	;; [unrolled: 1-line block ×4, first 2 shown]
	s_waitcnt vmcnt(12) lgkmcnt(0)
	v_mul_f32_e32 v3, v25, v69
	v_mul_f32_e32 v97, v24, v69
	v_fma_f32 v96, v24, v68, -v3
	v_fmac_f32_e32 v97, v25, v68
	ds_read2_b64 v[68:71], v124 offset0:26 offset1:39
	s_waitcnt vmcnt(11)
	v_mul_f32_e32 v3, v27, v73
	v_mul_f32_e32 v25, v26, v73
	v_fma_f32 v24, v26, v72, -v3
	v_fmac_f32_e32 v25, v27, v72
	ds_write2_b64 v124, v[96:97], v[24:25] offset1:13
	ds_read2_b64 v[24:27], v124 offset0:52 offset1:65
	s_waitcnt vmcnt(10) lgkmcnt(2)
	v_mul_f32_e32 v3, v69, v75
	v_mul_f32_e32 v73, v68, v75
	v_fma_f32 v72, v68, v74, -v3
	v_fmac_f32_e32 v73, v69, v74
	s_waitcnt vmcnt(9)
	v_mul_f32_e32 v3, v71, v77
	v_mul_f32_e32 v69, v70, v77
	v_fma_f32 v68, v70, v76, -v3
	v_fmac_f32_e32 v69, v71, v76
	ds_write2_b64 v124, v[72:73], v[68:69] offset0:26 offset1:39
	ds_read2_b64 v[68:71], v124 offset0:78 offset1:91
	s_waitcnt vmcnt(8) lgkmcnt(2)
	v_mul_f32_e32 v3, v25, v79
	v_mul_f32_e32 v73, v24, v79
	v_fma_f32 v72, v24, v78, -v3
	v_fmac_f32_e32 v73, v25, v78
	s_waitcnt vmcnt(7)
	v_mul_f32_e32 v3, v27, v81
	v_mul_f32_e32 v25, v26, v81
	v_fma_f32 v24, v26, v80, -v3
	v_fmac_f32_e32 v25, v27, v80
	ds_write2_b64 v124, v[72:73], v[24:25] offset0:52 offset1:65
	;; [unrolled: 12-line block ×3, first 2 shown]
	ds_read2_b64 v[68:71], v124 offset0:130 offset1:143
	s_waitcnt vmcnt(4) lgkmcnt(2)
	v_mul_f32_e32 v3, v25, v87
	v_mul_f32_e32 v73, v24, v87
	v_fma_f32 v72, v24, v86, -v3
	v_fmac_f32_e32 v73, v25, v86
	s_waitcnt vmcnt(3)
	v_mul_f32_e32 v3, v27, v89
	v_mul_f32_e32 v25, v26, v89
	v_fma_f32 v24, v26, v88, -v3
	v_fmac_f32_e32 v25, v27, v88
	ds_read_b64 v[26:27], v124 offset:1248
	ds_write2_b64 v124, v[72:73], v[24:25] offset0:104 offset1:117
	s_waitcnt vmcnt(2) lgkmcnt(2)
	v_mul_f32_e32 v3, v69, v91
	v_mul_f32_e32 v25, v68, v91
	v_fma_f32 v24, v68, v90, -v3
	v_fmac_f32_e32 v25, v69, v90
	s_waitcnt vmcnt(1)
	v_mul_f32_e32 v3, v71, v93
	v_mul_f32_e32 v69, v70, v93
	v_fma_f32 v68, v70, v92, -v3
	v_fmac_f32_e32 v69, v71, v92
	ds_write2_b64 v124, v[24:25], v[68:69] offset0:130 offset1:143
	s_waitcnt vmcnt(0) lgkmcnt(2)
	v_mul_f32_e32 v3, v27, v95
	v_mul_f32_e32 v25, v26, v95
	v_fma_f32 v24, v26, v94, -v3
	v_fmac_f32_e32 v25, v27, v94
	ds_write_b64 v124, v[24:25] offset:1248
	s_waitcnt lgkmcnt(0)
	s_barrier
	ds_read2_b64 v[72:75], v124 offset0:26 offset1:39
	ds_read2_b64 v[80:83], v124 offset0:52 offset1:65
	ds_read2_b64 v[24:27], v124 offset1:13
	ds_read2_b64 v[86:89], v124 offset0:78 offset1:91
	ds_read2_b64 v[90:93], v124 offset0:104 offset1:117
	;; [unrolled: 1-line block ×3, first 2 shown]
	ds_read_b64 v[68:69], v124 offset:1248
	s_waitcnt lgkmcnt(4)
	v_pk_add_f32 v[70:71], v[24:25], v[26:27]
	v_pk_add_f32 v[70:71], v[70:71], v[72:73]
	;; [unrolled: 1-line block ×5, first 2 shown]
	s_waitcnt lgkmcnt(3)
	v_pk_add_f32 v[70:71], v[70:71], v[86:87]
	v_pk_add_f32 v[70:71], v[70:71], v[88:89]
	s_waitcnt lgkmcnt(2)
	v_pk_add_f32 v[70:71], v[70:71], v[90:91]
	v_pk_add_f32 v[70:71], v[70:71], v[92:93]
	;; [unrolled: 3-line block ×3, first 2 shown]
	s_waitcnt lgkmcnt(0)
	v_pk_add_f32 v[116:117], v[26:27], v[68:69] neg_lo:[0,1] neg_hi:[0,1]
	v_pk_add_f32 v[94:95], v[70:71], v[68:69]
	v_pk_add_f32 v[114:115], v[68:69], v[26:27]
	v_pk_mul_f32 v[68:69], v[116:117], s[26:27] op_sel_hi:[1,0]
	v_pk_fma_f32 v[26:27], v[114:115], s[10:11], v[68:69] op_sel:[0,0,1] op_sel_hi:[1,0,0]
	v_pk_fma_f32 v[68:69], v[114:115], s[10:11], v[68:69] op_sel:[0,0,1] op_sel_hi:[1,0,0] neg_lo:[0,0,1] neg_hi:[0,0,1]
	v_pk_add_f32 v[120:121], v[72:73], v[78:79] neg_lo:[0,1] neg_hi:[0,1]
	v_mov_b32_e32 v70, v26
	v_mov_b32_e32 v71, v69
	v_pk_add_f32 v[118:119], v[78:79], v[72:73]
	v_pk_mul_f32 v[72:73], v[120:121], s[12:13] op_sel_hi:[1,0]
	v_pk_add_f32 v[128:129], v[74:75], v[76:77] neg_lo:[0,1] neg_hi:[0,1]
	v_pk_add_f32 v[84:85], v[24:25], v[70:71]
	v_pk_fma_f32 v[70:71], v[118:119], s[8:9], v[72:73] op_sel:[0,0,1] op_sel_hi:[1,0,0]
	v_pk_fma_f32 v[72:73], v[118:119], s[8:9], v[72:73] op_sel:[0,0,1] op_sel_hi:[1,0,0] neg_lo:[0,0,1] neg_hi:[0,0,1]
	v_pk_add_f32 v[122:123], v[76:77], v[74:75]
	v_pk_mul_f32 v[76:77], v[128:129], s[18:19] op_sel_hi:[1,0]
	v_mov_b32_e32 v78, v70
	v_mov_b32_e32 v79, v73
	v_pk_fma_f32 v[74:75], v[122:123], s[2:3], v[76:77] op_sel:[0,0,1] op_sel_hi:[1,0,0]
	v_pk_fma_f32 v[76:77], v[122:123], s[2:3], v[76:77] op_sel:[0,0,1] op_sel_hi:[1,0,0] neg_lo:[0,0,1] neg_hi:[0,0,1]
	v_pk_add_f32 v[132:133], v[80:81], v[92:93] neg_lo:[0,1] neg_hi:[0,1]
	v_pk_add_f32 v[78:79], v[78:79], v[84:85]
	v_mov_b32_e32 v84, v74
	v_mov_b32_e32 v85, v77
	v_pk_add_f32 v[130:131], v[92:93], v[80:81]
	v_pk_mul_f32 v[80:81], v[132:133], s[6:7] op_sel_hi:[1,0]
	v_pk_add_f32 v[84:85], v[84:85], v[78:79]
	v_pk_fma_f32 v[78:79], v[130:131], s[36:37], v[80:81] op_sel:[0,0,1] op_sel_hi:[1,0,0]
	v_pk_fma_f32 v[80:81], v[130:131], s[36:37], v[80:81] op_sel:[0,0,1] op_sel_hi:[1,0,0] neg_lo:[0,0,1] neg_hi:[0,0,1]
	v_mov_b32_e32 v92, v78
	v_mov_b32_e32 v93, v81
	v_pk_add_f32 v[136:137], v[82:83], v[90:91] neg_lo:[0,1] neg_hi:[0,1]
	v_pk_add_f32 v[92:93], v[92:93], v[84:85]
	v_pk_add_f32 v[134:135], v[90:91], v[82:83]
	v_pk_mul_f32 v[84:85], v[136:137], s[14:15] op_sel_hi:[1,0]
	v_pk_add_f32 v[140:141], v[86:87], v[88:89] neg_lo:[0,1] neg_hi:[0,1]
	v_pk_fma_f32 v[82:83], v[134:135], s[38:39], v[84:85] op_sel:[0,0,1] op_sel_hi:[1,0,0]
	v_pk_fma_f32 v[84:85], v[134:135], s[38:39], v[84:85] op_sel:[0,0,1] op_sel_hi:[1,0,0] neg_lo:[0,0,1] neg_hi:[0,0,1]
	v_pk_add_f32 v[138:139], v[88:89], v[86:87]
	v_pk_mul_f32 v[88:89], v[140:141], s[16:17] op_sel_hi:[1,0]
	v_mov_b32_e32 v90, v82
	v_mov_b32_e32 v91, v85
	v_pk_fma_f32 v[86:87], v[138:139], s[40:41], v[88:89] op_sel:[0,0,1] op_sel_hi:[1,0,0]
	v_pk_fma_f32 v[88:89], v[138:139], s[40:41], v[88:89] op_sel:[0,0,1] op_sel_hi:[1,0,0] neg_lo:[0,0,1] neg_hi:[0,0,1]
	v_pk_add_f32 v[90:91], v[90:91], v[92:93]
	v_mov_b32_e32 v92, v86
	v_mov_b32_e32 v93, v89
	v_pk_add_f32 v[90:91], v[92:93], v[90:91]
	v_pk_mul_f32 v[92:93], v[116:117], s[12:13] op_sel_hi:[1,0]
	s_barrier
	ds_write2_b64 v126, v[94:95], v[90:91] offset1:1
	v_pk_fma_f32 v[90:91], v[114:115], s[8:9], v[92:93] op_sel:[0,0,1] op_sel_hi:[1,0,0]
	v_pk_fma_f32 v[92:93], v[114:115], s[8:9], v[92:93] op_sel:[0,0,1] op_sel_hi:[1,0,0] neg_lo:[0,0,1] neg_hi:[0,0,1]
	v_mov_b32_e32 v94, v90
	v_mov_b32_e32 v95, v93
	v_pk_mul_f32 v[96:97], v[120:121], s[6:7] op_sel_hi:[1,0]
	v_pk_add_f32 v[98:99], v[24:25], v[94:95]
	v_pk_fma_f32 v[94:95], v[118:119], s[36:37], v[96:97] op_sel:[0,0,1] op_sel_hi:[1,0,0]
	v_pk_fma_f32 v[96:97], v[118:119], s[36:37], v[96:97] op_sel:[0,0,1] op_sel_hi:[1,0,0] neg_lo:[0,0,1] neg_hi:[0,0,1]
	v_mov_b32_e32 v100, v94
	v_mov_b32_e32 v101, v97
	v_pk_add_f32 v[102:103], v[100:101], v[98:99]
	v_pk_mul_f32 v[100:101], v[128:129], s[16:17] op_sel_hi:[1,0]
	v_pk_fma_f32 v[98:99], v[122:123], s[40:41], v[100:101] op_sel:[0,0,1] op_sel_hi:[1,0,0]
	v_pk_fma_f32 v[100:101], v[122:123], s[40:41], v[100:101] op_sel:[0,0,1] op_sel_hi:[1,0,0] neg_lo:[0,0,1] neg_hi:[0,0,1]
	v_mov_b32_e32 v104, v98
	v_mov_b32_e32 v105, v101
	v_pk_add_f32 v[106:107], v[104:105], v[102:103]
	v_pk_mul_f32 v[104:105], v[132:133], s[24:25] op_sel_hi:[1,0]
	;; [unrolled: 6-line block ×5, first 2 shown]
	v_pk_fma_f32 v[146:147], v[114:115], s[2:3], v[144:145] op_sel:[0,0,1] op_sel_hi:[1,0,0]
	v_pk_fma_f32 v[144:145], v[114:115], s[2:3], v[144:145] op_sel:[0,0,1] op_sel_hi:[1,0,0] neg_lo:[0,0,1] neg_hi:[0,0,1]
	v_pk_mul_f32 v[150:151], v[120:121], s[16:17] op_sel_hi:[1,0]
	v_mov_b32_e32 v148, v146
	v_mov_b32_e32 v149, v145
	v_pk_fma_f32 v[152:153], v[118:119], s[40:41], v[150:151] op_sel:[0,0,1] op_sel_hi:[1,0,0]
	v_pk_fma_f32 v[150:151], v[118:119], s[40:41], v[150:151] op_sel:[0,0,1] op_sel_hi:[1,0,0] neg_lo:[0,0,1] neg_hi:[0,0,1]
	v_pk_add_f32 v[148:149], v[24:25], v[148:149]
	v_mov_b32_e32 v154, v152
	v_mov_b32_e32 v155, v151
	v_pk_add_f32 v[148:149], v[154:155], v[148:149]
	v_pk_mul_f32 v[154:155], v[128:129], s[34:35] op_sel_hi:[1,0]
	v_pk_fma_f32 v[156:157], v[122:123], s[36:37], v[154:155] op_sel:[0,0,1] op_sel_hi:[1,0,0]
	v_pk_fma_f32 v[154:155], v[122:123], s[36:37], v[154:155] op_sel:[0,0,1] op_sel_hi:[1,0,0] neg_lo:[0,0,1] neg_hi:[0,0,1]
	v_mov_b32_e32 v158, v156
	v_mov_b32_e32 v159, v155
	v_pk_add_f32 v[148:149], v[158:159], v[148:149]
	v_pk_mul_f32 v[158:159], v[132:133], s[22:23] op_sel_hi:[1,0]
	v_pk_fma_f32 v[160:161], v[130:131], s[10:11], v[158:159] op_sel:[0,0,1] op_sel_hi:[1,0,0]
	v_pk_fma_f32 v[158:159], v[130:131], s[10:11], v[158:159] op_sel:[0,0,1] op_sel_hi:[1,0,0] neg_lo:[0,0,1] neg_hi:[0,0,1]
	;; [unrolled: 6-line block ×4, first 2 shown]
	v_mov_b32_e32 v170, v168
	v_mov_b32_e32 v171, v167
	v_pk_add_f32 v[148:149], v[170:171], v[148:149]
	ds_write2_b64 v126, v[142:143], v[148:149] offset0:2 offset1:3
	v_pk_mul_f32 v[142:143], v[116:117], s[6:7] op_sel_hi:[1,0]
	v_pk_fma_f32 v[148:149], v[114:115], s[36:37], v[142:143] op_sel:[0,0,1] op_sel_hi:[1,0,0]
	v_pk_fma_f32 v[142:143], v[114:115], s[36:37], v[142:143] op_sel:[0,0,1] op_sel_hi:[1,0,0] neg_lo:[0,0,1] neg_hi:[0,0,1]
	v_pk_mul_f32 v[172:173], v[120:121], s[24:25] op_sel_hi:[1,0]
	v_mov_b32_e32 v170, v148
	v_mov_b32_e32 v171, v143
	v_pk_fma_f32 v[174:175], v[118:119], s[38:39], v[172:173] op_sel:[0,0,1] op_sel_hi:[1,0,0]
	v_pk_fma_f32 v[172:173], v[118:119], s[38:39], v[172:173] op_sel:[0,0,1] op_sel_hi:[1,0,0] neg_lo:[0,0,1] neg_hi:[0,0,1]
	v_pk_add_f32 v[170:171], v[24:25], v[170:171]
	v_mov_b32_e32 v176, v174
	v_mov_b32_e32 v177, v173
	v_pk_add_f32 v[170:171], v[176:177], v[170:171]
	v_pk_mul_f32 v[176:177], v[128:129], s[22:23] op_sel_hi:[1,0]
	v_pk_fma_f32 v[178:179], v[122:123], s[10:11], v[176:177] op_sel:[0,0,1] op_sel_hi:[1,0,0]
	v_pk_fma_f32 v[176:177], v[122:123], s[10:11], v[176:177] op_sel:[0,0,1] op_sel_hi:[1,0,0] neg_lo:[0,0,1] neg_hi:[0,0,1]
	v_mov_b32_e32 v180, v178
	v_mov_b32_e32 v181, v177
	v_pk_add_f32 v[170:171], v[180:181], v[170:171]
	v_pk_mul_f32 v[180:181], v[132:133], s[18:19] op_sel_hi:[1,0]
	v_pk_fma_f32 v[182:183], v[130:131], s[2:3], v[180:181] op_sel:[0,0,1] op_sel_hi:[1,0,0]
	v_pk_fma_f32 v[180:181], v[130:131], s[2:3], v[180:181] op_sel:[0,0,1] op_sel_hi:[1,0,0] neg_lo:[0,0,1] neg_hi:[0,0,1]
	;; [unrolled: 6-line block ×5, first 2 shown]
	v_pk_mul_f32 v[198:199], v[120:121], s[20:21] op_sel_hi:[1,0]
	v_mov_b32_e32 v196, v194
	v_mov_b32_e32 v197, v193
	v_pk_fma_f32 v[200:201], v[118:119], s[2:3], v[198:199] op_sel:[0,0,1] op_sel_hi:[1,0,0]
	v_pk_fma_f32 v[198:199], v[118:119], s[2:3], v[198:199] op_sel:[0,0,1] op_sel_hi:[1,0,0] neg_lo:[0,0,1] neg_hi:[0,0,1]
	v_pk_add_f32 v[196:197], v[24:25], v[196:197]
	v_mov_b32_e32 v202, v200
	v_mov_b32_e32 v203, v199
	v_pk_add_f32 v[196:197], v[202:203], v[196:197]
	v_pk_mul_f32 v[202:203], v[128:129], s[12:13] op_sel_hi:[1,0]
	v_pk_fma_f32 v[204:205], v[122:123], s[8:9], v[202:203] op_sel:[0,0,1] op_sel_hi:[1,0,0]
	v_pk_fma_f32 v[202:203], v[122:123], s[8:9], v[202:203] op_sel:[0,0,1] op_sel_hi:[1,0,0] neg_lo:[0,0,1] neg_hi:[0,0,1]
	v_mov_b32_e32 v206, v204
	v_mov_b32_e32 v207, v203
	v_pk_add_f32 v[196:197], v[206:207], v[196:197]
	v_pk_mul_f32 v[206:207], v[132:133], s[30:31] op_sel_hi:[1,0]
	v_pk_fma_f32 v[208:209], v[130:131], s[40:41], v[206:207] op_sel:[0,0,1] op_sel_hi:[1,0,0]
	v_pk_fma_f32 v[206:207], v[130:131], s[40:41], v[206:207] op_sel:[0,0,1] op_sel_hi:[1,0,0] neg_lo:[0,0,1] neg_hi:[0,0,1]
	;; [unrolled: 6-line block ×4, first 2 shown]
	v_mov_b32_e32 v218, v216
	v_mov_b32_e32 v219, v215
	v_pk_add_f32 v[196:197], v[218:219], v[196:197]
	v_pk_mul_f32 v[116:117], v[116:117], s[16:17] op_sel_hi:[1,0]
	ds_write2_b64 v126, v[170:171], v[196:197] offset0:4 offset1:5
	v_pk_fma_f32 v[170:171], v[114:115], s[40:41], v[116:117] op_sel:[0,0,1] op_sel_hi:[1,0,0]
	v_pk_fma_f32 v[114:115], v[114:115], s[40:41], v[116:117] op_sel:[0,0,1] op_sel_hi:[1,0,0] neg_lo:[0,0,1] neg_hi:[0,0,1]
	v_pk_mul_f32 v[120:121], v[120:121], s[22:23] op_sel_hi:[1,0]
	v_mov_b32_e32 v116, v170
	v_mov_b32_e32 v117, v115
	v_pk_fma_f32 v[196:197], v[118:119], s[10:11], v[120:121] op_sel:[0,0,1] op_sel_hi:[1,0,0]
	v_pk_fma_f32 v[118:119], v[118:119], s[10:11], v[120:121] op_sel:[0,0,1] op_sel_hi:[1,0,0] neg_lo:[0,0,1] neg_hi:[0,0,1]
	v_pk_add_f32 v[116:117], v[24:25], v[116:117]
	v_mov_b32_e32 v120, v196
	v_mov_b32_e32 v121, v119
	v_pk_add_f32 v[116:117], v[120:121], v[116:117]
	v_pk_mul_f32 v[120:121], v[128:129], s[14:15] op_sel_hi:[1,0]
	v_pk_fma_f32 v[128:129], v[122:123], s[38:39], v[120:121] op_sel:[0,0,1] op_sel_hi:[1,0,0]
	v_pk_fma_f32 v[120:121], v[122:123], s[38:39], v[120:121] op_sel:[0,0,1] op_sel_hi:[1,0,0] neg_lo:[0,0,1] neg_hi:[0,0,1]
	v_mov_b32_e32 v122, v128
	v_mov_b32_e32 v123, v121
	v_pk_add_f32 v[116:117], v[122:123], v[116:117]
	v_pk_mul_f32 v[122:123], v[132:133], s[28:29] op_sel_hi:[1,0]
	v_pk_fma_f32 v[132:133], v[130:131], s[8:9], v[122:123] op_sel:[0,0,1] op_sel_hi:[1,0,0]
	v_pk_fma_f32 v[122:123], v[130:131], s[8:9], v[122:123] op_sel:[0,0,1] op_sel_hi:[1,0,0] neg_lo:[0,0,1] neg_hi:[0,0,1]
	v_mov_b32_e32 v130, v132
	v_mov_b32_e32 v131, v123
	v_pk_add_f32 v[116:117], v[130:131], v[116:117]
	v_pk_mul_f32 v[130:131], v[136:137], s[6:7] op_sel_hi:[1,0]
	v_mov_b32_e32 v115, v171
	v_pk_fma_f32 v[136:137], v[134:135], s[36:37], v[130:131] op_sel:[0,0,1] op_sel_hi:[1,0,0]
	v_pk_fma_f32 v[130:131], v[134:135], s[36:37], v[130:131] op_sel:[0,0,1] op_sel_hi:[1,0,0] neg_lo:[0,0,1] neg_hi:[0,0,1]
	v_pk_add_f32 v[114:115], v[24:25], v[114:115]
	v_mov_b32_e32 v119, v197
	v_mov_b32_e32 v134, v136
	;; [unrolled: 1-line block ×3, first 2 shown]
	v_pk_add_f32 v[114:115], v[118:119], v[114:115]
	v_mov_b32_e32 v121, v129
	v_pk_add_f32 v[116:117], v[134:135], v[116:117]
	v_pk_mul_f32 v[134:135], v[140:141], s[20:21] op_sel_hi:[1,0]
	v_pk_add_f32 v[114:115], v[120:121], v[114:115]
	v_mov_b32_e32 v123, v133
	v_pk_fma_f32 v[140:141], v[138:139], s[2:3], v[134:135] op_sel:[0,0,1] op_sel_hi:[1,0,0]
	v_pk_fma_f32 v[134:135], v[138:139], s[2:3], v[134:135] op_sel:[0,0,1] op_sel_hi:[1,0,0] neg_lo:[0,0,1] neg_hi:[0,0,1]
	v_pk_add_f32 v[114:115], v[122:123], v[114:115]
	v_mov_b32_e32 v131, v137
	v_mov_b32_e32 v138, v140
	;; [unrolled: 1-line block ×3, first 2 shown]
	v_pk_add_f32 v[114:115], v[130:131], v[114:115]
	v_mov_b32_e32 v135, v141
	v_pk_add_f32 v[116:117], v[138:139], v[116:117]
	v_pk_add_f32 v[114:115], v[134:135], v[114:115]
	v_mov_b32_e32 v193, v195
	v_mov_b32_e32 v143, v149
	ds_write2_b64 v126, v[116:117], v[114:115] offset0:6 offset1:7
	v_pk_add_f32 v[114:115], v[24:25], v[192:193]
	v_mov_b32_e32 v199, v201
	v_pk_add_f32 v[116:117], v[24:25], v[142:143]
	v_mov_b32_e32 v173, v175
	;; [unrolled: 2-line block ×10, first 2 shown]
	v_pk_add_f32 v[114:115], v[214:215], v[114:115]
	v_pk_add_f32 v[116:117], v[188:189], v[116:117]
	v_mov_b32_e32 v145, v147
	v_mov_b32_e32 v93, v91
	;; [unrolled: 1-line block ×3, first 2 shown]
	ds_write2_b64 v126, v[114:115], v[116:117] offset0:8 offset1:9
	v_pk_add_f32 v[114:115], v[24:25], v[144:145]
	v_mov_b32_e32 v151, v153
	v_pk_add_f32 v[90:91], v[24:25], v[92:93]
	v_mov_b32_e32 v97, v95
	;; [unrolled: 2-line block ×15, first 2 shown]
	v_pk_add_f32 v[114:115], v[166:167], v[114:115]
	v_pk_add_f32 v[90:91], v[112:113], v[90:91]
	;; [unrolled: 1-line block ×3, first 2 shown]
	ds_write2_b64 v126, v[114:115], v[90:91] offset0:10 offset1:11
	ds_write_b64 v126, v[24:25] offset:96
	s_waitcnt lgkmcnt(0)
	s_barrier
	ds_read2_b64 v[24:27], v124 offset1:13
	ds_read2_b64 v[68:71], v124 offset0:52 offset1:65
	ds_read2_b64 v[72:75], v124 offset0:78 offset1:91
	ds_read2_b64 v[76:79], v124 offset0:104 offset1:117
	ds_read2_b64 v[80:83], v124 offset0:130 offset1:143
	ds_read_b64 v[84:85], v124 offset:1248
	s_waitcnt lgkmcnt(4)
	v_pk_mul_f32 v[56:57], v[56:57], v[68:69] op_sel_hi:[0,1]
	v_pk_fma_f32 v[86:87], v[2:3], v[68:69], v[56:57] op_sel:[0,0,1] op_sel_hi:[1,1,0]
	v_pk_fma_f32 v[2:3], v[2:3], v[68:69], v[56:57] op_sel:[0,0,1] op_sel_hi:[0,1,0] neg_lo:[0,0,1] neg_hi:[0,0,1]
	v_mov_b32_e32 v87, v3
	v_pk_mul_f32 v[2:3], v[12:13], v[70:71] op_sel:[1,0]
	v_pk_fma_f32 v[56:57], v[12:13], v[70:71], v[2:3] op_sel:[0,0,1] op_sel_hi:[1,1,0]
	v_pk_fma_f32 v[2:3], v[12:13], v[70:71], v[2:3] op_sel:[0,0,1] op_sel_hi:[0,1,0] neg_lo:[0,0,1] neg_hi:[0,0,1]
	v_mov_b32_e32 v57, v3
	s_waitcnt lgkmcnt(3)
	v_pk_mul_f32 v[2:3], v[58:59], v[72:73] op_sel_hi:[0,1]
	v_pk_fma_f32 v[58:59], v[14:15], v[72:73], v[2:3] op_sel:[0,0,1] op_sel_hi:[1,1,0]
	v_pk_fma_f32 v[2:3], v[14:15], v[72:73], v[2:3] op_sel:[0,0,1] op_sel_hi:[0,1,0] neg_lo:[0,0,1] neg_hi:[0,0,1]
	v_mov_b32_e32 v59, v3
	v_pk_mul_f32 v[2:3], v[8:9], v[74:75] op_sel:[1,0]
	v_pk_fma_f32 v[68:69], v[8:9], v[74:75], v[2:3] op_sel:[0,0,1] op_sel_hi:[1,1,0]
	v_pk_fma_f32 v[2:3], v[8:9], v[74:75], v[2:3] op_sel:[0,0,1] op_sel_hi:[0,1,0] neg_lo:[0,0,1] neg_hi:[0,0,1]
	v_mov_b32_e32 v69, v3
	;; [unrolled: 9-line block ×4, first 2 shown]
	s_waitcnt lgkmcnt(0)
	v_pk_mul_f32 v[2:3], v[64:65], v[84:85] op_sel_hi:[0,1]
	ds_read2_b64 v[8:11], v124 offset0:26 offset1:39
	v_pk_fma_f32 v[16:17], v[18:19], v[84:85], v[2:3] op_sel:[0,0,1] op_sel_hi:[1,1,0]
	v_pk_fma_f32 v[2:3], v[18:19], v[84:85], v[2:3] op_sel:[0,0,1] op_sel_hi:[0,1,0] neg_lo:[0,0,1] neg_hi:[0,0,1]
	v_mov_b32_e32 v17, v3
	v_pk_mul_f32 v[2:3], v[4:5], v[26:27] op_sel:[1,0]
	v_pk_fma_f32 v[18:19], v[4:5], v[26:27], v[2:3] op_sel:[0,0,1] op_sel_hi:[1,1,0]
	v_pk_fma_f32 v[2:3], v[4:5], v[26:27], v[2:3] op_sel:[0,0,1] op_sel_hi:[0,1,0] neg_lo:[0,0,1] neg_hi:[0,0,1]
	v_mov_b32_e32 v2, v7
	v_mov_b32_e32 v19, v3
	s_waitcnt lgkmcnt(0)
	v_pk_mul_f32 v[2:3], v[2:3], v[8:9] op_sel_hi:[0,1]
	v_pk_fma_f32 v[4:5], v[6:7], v[8:9], v[2:3] op_sel:[0,0,1] op_sel_hi:[1,1,0]
	v_pk_fma_f32 v[2:3], v[6:7], v[8:9], v[2:3] op_sel:[0,0,1] op_sel_hi:[0,1,0] neg_lo:[0,0,1] neg_hi:[0,0,1]
	v_mov_b32_e32 v5, v3
	v_pk_mul_f32 v[2:3], v[0:1], v[10:11] op_sel:[1,0]
	v_pk_fma_f32 v[8:9], v[0:1], v[10:11], v[2:3] op_sel:[0,0,1] op_sel_hi:[1,1,0]
	v_pk_fma_f32 v[0:1], v[0:1], v[10:11], v[2:3] op_sel:[0,0,1] op_sel_hi:[0,1,0] neg_lo:[0,0,1] neg_hi:[0,0,1]
	v_mov_b32_e32 v9, v1
	v_pk_add_f32 v[0:1], v[24:25], v[18:19]
	v_pk_add_f32 v[0:1], v[0:1], v[4:5]
	;; [unrolled: 1-line block ×10, first 2 shown]
	v_pk_add_f32 v[64:65], v[18:19], v[16:17] neg_lo:[0,1] neg_hi:[0,1]
	v_pk_add_f32 v[0:1], v[0:1], v[20:21]
	v_pk_add_f32 v[62:63], v[18:19], v[16:17]
	v_pk_mul_f32 v[2:3], v[64:65], s[26:27] op_sel_hi:[1,0]
	v_pk_add_f32 v[26:27], v[0:1], v[16:17]
	v_pk_fma_f32 v[0:1], v[62:63], s[10:11], v[2:3] op_sel:[0,0,1] op_sel_hi:[1,0,0]
	v_pk_fma_f32 v[2:3], v[62:63], s[10:11], v[2:3] op_sel:[0,0,1] op_sel_hi:[1,0,0] neg_lo:[0,0,1] neg_hi:[0,0,1]
	v_mov_b32_e32 v6, v0
	v_mov_b32_e32 v7, v3
	v_pk_add_f32 v[72:73], v[4:5], v[20:21] neg_lo:[0,1] neg_hi:[0,1]
	v_pk_add_f32 v[10:11], v[24:25], v[6:7]
	v_pk_add_f32 v[70:71], v[4:5], v[20:21]
	v_pk_mul_f32 v[6:7], v[72:73], s[12:13] op_sel_hi:[1,0]
	v_pk_fma_f32 v[4:5], v[70:71], s[8:9], v[6:7] op_sel:[0,0,1] op_sel_hi:[1,0,0]
	v_pk_fma_f32 v[6:7], v[70:71], s[8:9], v[6:7] op_sel:[0,0,1] op_sel_hi:[1,0,0] neg_lo:[0,0,1] neg_hi:[0,0,1]
	v_mov_b32_e32 v16, v4
	v_mov_b32_e32 v17, v7
	v_pk_add_f32 v[76:77], v[8:9], v[14:15] neg_lo:[0,1] neg_hi:[0,1]
	v_pk_add_f32 v[16:17], v[16:17], v[10:11]
	v_pk_add_f32 v[74:75], v[8:9], v[14:15]
	v_pk_mul_f32 v[10:11], v[76:77], s[18:19] op_sel_hi:[1,0]
	;; [unrolled: 8-line block ×3, first 2 shown]
	v_pk_fma_f32 v[12:13], v[78:79], s[36:37], v[14:15] op_sel:[0,0,1] op_sel_hi:[1,0,0]
	v_pk_fma_f32 v[14:15], v[78:79], s[36:37], v[14:15] op_sel:[0,0,1] op_sel_hi:[1,0,0] neg_lo:[0,0,1] neg_hi:[0,0,1]
	v_mov_b32_e32 v18, v12
	v_mov_b32_e32 v19, v15
	v_pk_add_f32 v[82:83], v[56:57], v[60:61]
	v_pk_add_f32 v[56:57], v[56:57], v[60:61] neg_lo:[0,1] neg_hi:[0,1]
	v_pk_add_f32 v[20:21], v[18:19], v[16:17]
	v_pk_mul_f32 v[18:19], v[56:57], s[14:15] op_sel_hi:[1,0]
	v_pk_fma_f32 v[16:17], v[82:83], s[38:39], v[18:19] op_sel:[0,0,1] op_sel_hi:[1,0,0]
	v_pk_fma_f32 v[18:19], v[82:83], s[38:39], v[18:19] op_sel:[0,0,1] op_sel_hi:[1,0,0] neg_lo:[0,0,1] neg_hi:[0,0,1]
	v_mov_b32_e32 v22, v16
	v_mov_b32_e32 v23, v19
	v_pk_add_f32 v[84:85], v[58:59], v[68:69]
	v_pk_add_f32 v[58:59], v[58:59], v[68:69] neg_lo:[0,1] neg_hi:[0,1]
	v_pk_add_f32 v[60:61], v[22:23], v[20:21]
	v_pk_mul_f32 v[22:23], v[58:59], s[16:17] op_sel_hi:[1,0]
	v_pk_fma_f32 v[20:21], v[84:85], s[40:41], v[22:23] op_sel:[0,0,1] op_sel_hi:[1,0,0]
	v_pk_fma_f32 v[22:23], v[84:85], s[40:41], v[22:23] op_sel:[0,0,1] op_sel_hi:[1,0,0] neg_lo:[0,0,1] neg_hi:[0,0,1]
	v_mov_b32_e32 v68, v20
	v_mov_b32_e32 v69, v23
	v_pk_add_f32 v[60:61], v[68:69], v[60:61]
	ds_write2_b64 v124, v[26:27], v[60:61] offset1:13
	v_pk_mul_f32 v[26:27], v[64:65], s[12:13] op_sel_hi:[1,0]
	v_pk_fma_f32 v[60:61], v[62:63], s[8:9], v[26:27] op_sel:[0,0,1] op_sel_hi:[1,0,0]
	v_pk_fma_f32 v[26:27], v[62:63], s[8:9], v[26:27] op_sel:[0,0,1] op_sel_hi:[1,0,0] neg_lo:[0,0,1] neg_hi:[0,0,1]
	v_pk_mul_f32 v[86:87], v[72:73], s[6:7] op_sel_hi:[1,0]
	v_mov_b32_e32 v68, v60
	v_mov_b32_e32 v69, v27
	v_pk_fma_f32 v[88:89], v[70:71], s[36:37], v[86:87] op_sel:[0,0,1] op_sel_hi:[1,0,0]
	v_pk_fma_f32 v[86:87], v[70:71], s[36:37], v[86:87] op_sel:[0,0,1] op_sel_hi:[1,0,0] neg_lo:[0,0,1] neg_hi:[0,0,1]
	v_pk_add_f32 v[68:69], v[24:25], v[68:69]
	v_mov_b32_e32 v90, v88
	v_mov_b32_e32 v91, v87
	v_pk_add_f32 v[68:69], v[90:91], v[68:69]
	v_pk_mul_f32 v[90:91], v[76:77], s[16:17] op_sel_hi:[1,0]
	v_pk_fma_f32 v[92:93], v[74:75], s[40:41], v[90:91] op_sel:[0,0,1] op_sel_hi:[1,0,0]
	v_pk_fma_f32 v[90:91], v[74:75], s[40:41], v[90:91] op_sel:[0,0,1] op_sel_hi:[1,0,0] neg_lo:[0,0,1] neg_hi:[0,0,1]
	v_mov_b32_e32 v94, v92
	v_mov_b32_e32 v95, v91
	v_pk_add_f32 v[68:69], v[94:95], v[68:69]
	v_pk_mul_f32 v[94:95], v[80:81], s[24:25] op_sel_hi:[1,0]
	v_pk_fma_f32 v[96:97], v[78:79], s[38:39], v[94:95] op_sel:[0,0,1] op_sel_hi:[1,0,0]
	v_pk_fma_f32 v[94:95], v[78:79], s[38:39], v[94:95] op_sel:[0,0,1] op_sel_hi:[1,0,0] neg_lo:[0,0,1] neg_hi:[0,0,1]
	;; [unrolled: 6-line block ×5, first 2 shown]
	v_pk_mul_f32 v[112:113], v[72:73], s[16:17] op_sel_hi:[1,0]
	v_mov_b32_e32 v110, v108
	v_mov_b32_e32 v111, v107
	v_pk_fma_f32 v[114:115], v[70:71], s[40:41], v[112:113] op_sel:[0,0,1] op_sel_hi:[1,0,0]
	v_pk_fma_f32 v[112:113], v[70:71], s[40:41], v[112:113] op_sel:[0,0,1] op_sel_hi:[1,0,0] neg_lo:[0,0,1] neg_hi:[0,0,1]
	v_pk_add_f32 v[110:111], v[24:25], v[110:111]
	v_mov_b32_e32 v116, v114
	v_mov_b32_e32 v117, v113
	v_pk_add_f32 v[110:111], v[116:117], v[110:111]
	v_pk_mul_f32 v[116:117], v[76:77], s[34:35] op_sel_hi:[1,0]
	v_pk_fma_f32 v[118:119], v[74:75], s[36:37], v[116:117] op_sel:[0,0,1] op_sel_hi:[1,0,0]
	v_pk_fma_f32 v[116:117], v[74:75], s[36:37], v[116:117] op_sel:[0,0,1] op_sel_hi:[1,0,0] neg_lo:[0,0,1] neg_hi:[0,0,1]
	v_mov_b32_e32 v120, v118
	v_mov_b32_e32 v121, v117
	v_pk_add_f32 v[110:111], v[120:121], v[110:111]
	v_pk_mul_f32 v[120:121], v[80:81], s[22:23] op_sel_hi:[1,0]
	v_pk_fma_f32 v[122:123], v[78:79], s[10:11], v[120:121] op_sel:[0,0,1] op_sel_hi:[1,0,0]
	v_pk_fma_f32 v[120:121], v[78:79], s[10:11], v[120:121] op_sel:[0,0,1] op_sel_hi:[1,0,0] neg_lo:[0,0,1] neg_hi:[0,0,1]
	;; [unrolled: 6-line block ×4, first 2 shown]
	v_mov_b32_e32 v134, v132
	v_mov_b32_e32 v135, v131
	v_pk_add_f32 v[110:111], v[134:135], v[110:111]
	ds_write2_b64 v124, v[68:69], v[110:111] offset0:26 offset1:39
	v_pk_mul_f32 v[68:69], v[64:65], s[6:7] op_sel_hi:[1,0]
	v_pk_fma_f32 v[110:111], v[62:63], s[36:37], v[68:69] op_sel:[0,0,1] op_sel_hi:[1,0,0]
	v_pk_fma_f32 v[68:69], v[62:63], s[36:37], v[68:69] op_sel:[0,0,1] op_sel_hi:[1,0,0] neg_lo:[0,0,1] neg_hi:[0,0,1]
	v_pk_mul_f32 v[136:137], v[72:73], s[24:25] op_sel_hi:[1,0]
	v_mov_b32_e32 v134, v110
	v_mov_b32_e32 v135, v69
	v_pk_fma_f32 v[138:139], v[70:71], s[38:39], v[136:137] op_sel:[0,0,1] op_sel_hi:[1,0,0]
	v_pk_fma_f32 v[136:137], v[70:71], s[38:39], v[136:137] op_sel:[0,0,1] op_sel_hi:[1,0,0] neg_lo:[0,0,1] neg_hi:[0,0,1]
	v_pk_add_f32 v[134:135], v[24:25], v[134:135]
	v_mov_b32_e32 v140, v138
	v_mov_b32_e32 v141, v137
	v_pk_add_f32 v[134:135], v[140:141], v[134:135]
	v_pk_mul_f32 v[140:141], v[76:77], s[22:23] op_sel_hi:[1,0]
	v_pk_fma_f32 v[142:143], v[74:75], s[10:11], v[140:141] op_sel:[0,0,1] op_sel_hi:[1,0,0]
	v_pk_fma_f32 v[140:141], v[74:75], s[10:11], v[140:141] op_sel:[0,0,1] op_sel_hi:[1,0,0] neg_lo:[0,0,1] neg_hi:[0,0,1]
	v_mov_b32_e32 v144, v142
	v_mov_b32_e32 v145, v141
	v_pk_add_f32 v[134:135], v[144:145], v[134:135]
	v_pk_mul_f32 v[144:145], v[80:81], s[18:19] op_sel_hi:[1,0]
	v_pk_fma_f32 v[146:147], v[78:79], s[2:3], v[144:145] op_sel:[0,0,1] op_sel_hi:[1,0,0]
	v_pk_fma_f32 v[144:145], v[78:79], s[2:3], v[144:145] op_sel:[0,0,1] op_sel_hi:[1,0,0] neg_lo:[0,0,1] neg_hi:[0,0,1]
	;; [unrolled: 6-line block ×5, first 2 shown]
	v_pk_mul_f32 v[162:163], v[72:73], s[20:21] op_sel_hi:[1,0]
	v_mov_b32_e32 v160, v158
	v_mov_b32_e32 v161, v157
	v_pk_fma_f32 v[164:165], v[70:71], s[2:3], v[162:163] op_sel:[0,0,1] op_sel_hi:[1,0,0]
	v_pk_fma_f32 v[162:163], v[70:71], s[2:3], v[162:163] op_sel:[0,0,1] op_sel_hi:[1,0,0] neg_lo:[0,0,1] neg_hi:[0,0,1]
	v_pk_add_f32 v[160:161], v[24:25], v[160:161]
	v_mov_b32_e32 v166, v164
	v_mov_b32_e32 v167, v163
	v_pk_add_f32 v[160:161], v[166:167], v[160:161]
	v_pk_mul_f32 v[166:167], v[76:77], s[12:13] op_sel_hi:[1,0]
	v_pk_fma_f32 v[168:169], v[74:75], s[8:9], v[166:167] op_sel:[0,0,1] op_sel_hi:[1,0,0]
	v_pk_fma_f32 v[166:167], v[74:75], s[8:9], v[166:167] op_sel:[0,0,1] op_sel_hi:[1,0,0] neg_lo:[0,0,1] neg_hi:[0,0,1]
	v_mov_b32_e32 v170, v168
	v_mov_b32_e32 v171, v167
	v_pk_add_f32 v[160:161], v[170:171], v[160:161]
	v_pk_mul_f32 v[170:171], v[80:81], s[30:31] op_sel_hi:[1,0]
	v_pk_fma_f32 v[172:173], v[78:79], s[40:41], v[170:171] op_sel:[0,0,1] op_sel_hi:[1,0,0]
	v_pk_fma_f32 v[170:171], v[78:79], s[40:41], v[170:171] op_sel:[0,0,1] op_sel_hi:[1,0,0] neg_lo:[0,0,1] neg_hi:[0,0,1]
	;; [unrolled: 6-line block ×4, first 2 shown]
	v_mov_b32_e32 v182, v180
	v_mov_b32_e32 v183, v179
	v_pk_add_f32 v[160:161], v[182:183], v[160:161]
	v_pk_mul_f32 v[64:65], v[64:65], s[16:17] op_sel_hi:[1,0]
	ds_write2_b64 v124, v[134:135], v[160:161] offset0:52 offset1:65
	v_pk_fma_f32 v[134:135], v[62:63], s[40:41], v[64:65] op_sel:[0,0,1] op_sel_hi:[1,0,0]
	v_pk_fma_f32 v[62:63], v[62:63], s[40:41], v[64:65] op_sel:[0,0,1] op_sel_hi:[1,0,0] neg_lo:[0,0,1] neg_hi:[0,0,1]
	v_pk_mul_f32 v[72:73], v[72:73], s[22:23] op_sel_hi:[1,0]
	v_mov_b32_e32 v64, v134
	v_mov_b32_e32 v65, v63
	v_pk_fma_f32 v[160:161], v[70:71], s[10:11], v[72:73] op_sel:[0,0,1] op_sel_hi:[1,0,0]
	v_pk_fma_f32 v[70:71], v[70:71], s[10:11], v[72:73] op_sel:[0,0,1] op_sel_hi:[1,0,0] neg_lo:[0,0,1] neg_hi:[0,0,1]
	v_pk_add_f32 v[64:65], v[24:25], v[64:65]
	v_mov_b32_e32 v72, v160
	v_mov_b32_e32 v73, v71
	v_pk_add_f32 v[64:65], v[72:73], v[64:65]
	v_pk_mul_f32 v[72:73], v[76:77], s[14:15] op_sel_hi:[1,0]
	v_pk_fma_f32 v[76:77], v[74:75], s[38:39], v[72:73] op_sel:[0,0,1] op_sel_hi:[1,0,0]
	v_pk_fma_f32 v[72:73], v[74:75], s[38:39], v[72:73] op_sel:[0,0,1] op_sel_hi:[1,0,0] neg_lo:[0,0,1] neg_hi:[0,0,1]
	v_mov_b32_e32 v74, v76
	v_mov_b32_e32 v75, v73
	v_pk_add_f32 v[64:65], v[74:75], v[64:65]
	v_pk_mul_f32 v[74:75], v[80:81], s[28:29] op_sel_hi:[1,0]
	v_pk_fma_f32 v[80:81], v[78:79], s[8:9], v[74:75] op_sel:[0,0,1] op_sel_hi:[1,0,0]
	v_pk_fma_f32 v[74:75], v[78:79], s[8:9], v[74:75] op_sel:[0,0,1] op_sel_hi:[1,0,0] neg_lo:[0,0,1] neg_hi:[0,0,1]
	v_mov_b32_e32 v63, v135
	v_mov_b32_e32 v78, v80
	;; [unrolled: 1-line block ×3, first 2 shown]
	v_pk_mul_f32 v[56:57], v[56:57], s[6:7] op_sel_hi:[1,0]
	v_pk_add_f32 v[62:63], v[24:25], v[62:63]
	v_mov_b32_e32 v71, v161
	v_pk_add_f32 v[64:65], v[78:79], v[64:65]
	v_pk_fma_f32 v[78:79], v[82:83], s[36:37], v[56:57] op_sel:[0,0,1] op_sel_hi:[1,0,0]
	v_pk_fma_f32 v[56:57], v[82:83], s[36:37], v[56:57] op_sel:[0,0,1] op_sel_hi:[1,0,0] neg_lo:[0,0,1] neg_hi:[0,0,1]
	v_pk_add_f32 v[62:63], v[70:71], v[62:63]
	v_mov_b32_e32 v73, v77
	v_mov_b32_e32 v82, v78
	;; [unrolled: 1-line block ×3, first 2 shown]
	v_pk_mul_f32 v[58:59], v[58:59], s[20:21] op_sel_hi:[1,0]
	v_pk_add_f32 v[62:63], v[72:73], v[62:63]
	v_mov_b32_e32 v75, v81
	v_pk_add_f32 v[64:65], v[82:83], v[64:65]
	v_pk_fma_f32 v[82:83], v[84:85], s[2:3], v[58:59] op_sel:[0,0,1] op_sel_hi:[1,0,0]
	v_pk_fma_f32 v[58:59], v[84:85], s[2:3], v[58:59] op_sel:[0,0,1] op_sel_hi:[1,0,0] neg_lo:[0,0,1] neg_hi:[0,0,1]
	v_pk_add_f32 v[62:63], v[74:75], v[62:63]
	v_mov_b32_e32 v57, v79
	v_mov_b32_e32 v84, v82
	;; [unrolled: 1-line block ×3, first 2 shown]
	v_pk_add_f32 v[56:57], v[56:57], v[62:63]
	v_mov_b32_e32 v59, v83
	v_pk_add_f32 v[64:65], v[84:85], v[64:65]
	v_pk_add_f32 v[56:57], v[58:59], v[56:57]
	v_mov_b32_e32 v157, v159
	v_mov_b32_e32 v69, v111
	ds_write2_b64 v124, v[64:65], v[56:57] offset0:78 offset1:91
	v_pk_add_f32 v[56:57], v[24:25], v[156:157]
	v_mov_b32_e32 v163, v165
	v_pk_add_f32 v[58:59], v[24:25], v[68:69]
	v_mov_b32_e32 v137, v139
	;; [unrolled: 2-line block ×10, first 2 shown]
	v_pk_add_f32 v[56:57], v[178:179], v[56:57]
	v_pk_add_f32 v[58:59], v[152:153], v[58:59]
	v_mov_b32_e32 v107, v109
	v_mov_b32_e32 v27, v61
	;; [unrolled: 1-line block ×3, first 2 shown]
	ds_write2_b64 v124, v[56:57], v[58:59] offset0:104 offset1:117
	v_pk_add_f32 v[56:57], v[24:25], v[106:107]
	v_mov_b32_e32 v113, v115
	v_pk_add_f32 v[26:27], v[24:25], v[26:27]
	v_mov_b32_e32 v87, v89
	;; [unrolled: 2-line block ×15, first 2 shown]
	v_pk_add_f32 v[56:57], v[130:131], v[56:57]
	v_pk_add_f32 v[26:27], v[102:103], v[26:27]
	;; [unrolled: 1-line block ×3, first 2 shown]
	ds_write2_b64 v124, v[56:57], v[26:27] offset0:130 offset1:143
	ds_write_b64 v124, v[0:1] offset:1248
	s_waitcnt lgkmcnt(0)
	s_barrier
	ds_read2_b64 v[0:3], v124 offset1:13
	v_mov_b32_e32 v4, v67
	v_mad_u64_u32 v[4:5], s[2:3], s3, v36, v[4:5]
	v_mov_b32_e32 v67, v4
	s_waitcnt lgkmcnt(0)
	v_mul_f32_e32 v4, v55, v1
	v_fmac_f32_e32 v4, v54, v0
	v_mul_f32_e32 v0, v55, v0
	s_mov_b32 s2, 0x7ab2bedd
	v_fma_f32 v0, v54, v1, -v0
	v_cvt_f64_f32_e32 v[4:5], v4
	s_mov_b32 s3, 0x3f783c97
	v_cvt_f64_f32_e32 v[0:1], v0
	v_mul_f64 v[4:5], v[4:5], s[2:3]
	v_mul_f64 v[0:1], v[0:1], s[2:3]
	v_cvt_f32_f64_e32 v4, v[4:5]
	v_cvt_f32_f64_e32 v5, v[0:1]
	v_mad_u64_u32 v[0:1], s[6:7], s0, v125, 0
	v_mov_b32_e32 v6, v1
	v_mad_u64_u32 v[6:7], s[6:7], s1, v125, v[6:7]
	v_mov_b32_e32 v1, v6
	v_lshlrev_b64 v[6:7], 3, v[66:67]
	v_mov_b32_e32 v8, s5
	v_add_co_u32_e32 v6, vcc, s4, v6
	v_addc_co_u32_e32 v7, vcc, v8, v7, vcc
	v_lshlrev_b64 v[0:1], 3, v[0:1]
	v_add_co_u32_e32 v6, vcc, v6, v0
	v_mul_f32_e32 v0, v53, v3
	v_fmac_f32_e32 v0, v52, v2
	v_addc_co_u32_e32 v7, vcc, v7, v1, vcc
	v_cvt_f64_f32_e32 v[0:1], v0
	v_mul_f64 v[0:1], v[0:1], s[2:3]
	global_store_dwordx2 v[6:7], v[4:5], off
	v_cvt_f32_f64_e32 v4, v[0:1]
	v_mul_f32_e32 v0, v53, v2
	v_fma_f32 v0, v52, v3, -v0
	v_cvt_f64_f32_e32 v[0:1], v0
	v_mul_f64 v[0:1], v[0:1], s[2:3]
	v_cvt_f32_f64_e32 v5, v[0:1]
	ds_read2_b64 v[0:3], v124 offset0:26 offset1:39
	v_mad_u64_u32 v[6:7], s[4:5], s0, v37, v[6:7]
	s_mulk_i32 s1, 0x68
	v_add_u32_e32 v7, s1, v7
	global_store_dwordx2 v[6:7], v[4:5], off
	s_waitcnt lgkmcnt(0)
	v_mul_f32_e32 v4, v51, v1
	v_fmac_f32_e32 v4, v50, v0
	v_mul_f32_e32 v0, v51, v0
	v_fma_f32 v0, v50, v1, -v0
	v_cvt_f64_f32_e32 v[4:5], v4
	v_cvt_f64_f32_e32 v[0:1], v0
	v_mul_f64 v[4:5], v[4:5], s[2:3]
	v_mul_f64 v[0:1], v[0:1], s[2:3]
	v_cvt_f32_f64_e32 v4, v[4:5]
	v_cvt_f32_f64_e32 v5, v[0:1]
	v_mul_f32_e32 v0, v45, v3
	v_fmac_f32_e32 v0, v44, v2
	v_mad_u64_u32 v[6:7], s[4:5], s0, v37, v[6:7]
	v_cvt_f64_f32_e32 v[0:1], v0
	v_add_u32_e32 v7, s1, v7
	v_mul_f64 v[0:1], v[0:1], s[2:3]
	global_store_dwordx2 v[6:7], v[4:5], off
	v_cvt_f32_f64_e32 v4, v[0:1]
	v_mul_f32_e32 v0, v45, v2
	v_fma_f32 v0, v44, v3, -v0
	v_cvt_f64_f32_e32 v[0:1], v0
	v_mul_f64 v[0:1], v[0:1], s[2:3]
	v_cvt_f32_f64_e32 v5, v[0:1]
	ds_read2_b64 v[0:3], v124 offset0:52 offset1:65
	v_mad_u64_u32 v[6:7], s[4:5], s0, v37, v[6:7]
	v_add_u32_e32 v7, s1, v7
	global_store_dwordx2 v[6:7], v[4:5], off
	s_waitcnt lgkmcnt(0)
	v_mul_f32_e32 v4, v49, v1
	v_fmac_f32_e32 v4, v48, v0
	v_mul_f32_e32 v0, v49, v0
	v_fma_f32 v0, v48, v1, -v0
	v_cvt_f64_f32_e32 v[4:5], v4
	v_cvt_f64_f32_e32 v[0:1], v0
	v_mul_f64 v[4:5], v[4:5], s[2:3]
	v_mul_f64 v[0:1], v[0:1], s[2:3]
	v_cvt_f32_f64_e32 v4, v[4:5]
	v_cvt_f32_f64_e32 v5, v[0:1]
	v_mul_f32_e32 v0, v47, v3
	v_fmac_f32_e32 v0, v46, v2
	v_mad_u64_u32 v[6:7], s[4:5], s0, v37, v[6:7]
	v_cvt_f64_f32_e32 v[0:1], v0
	v_add_u32_e32 v7, s1, v7
	v_mul_f64 v[0:1], v[0:1], s[2:3]
	global_store_dwordx2 v[6:7], v[4:5], off
	v_cvt_f32_f64_e32 v4, v[0:1]
	v_mul_f32_e32 v0, v47, v2
	v_fma_f32 v0, v46, v3, -v0
	v_cvt_f64_f32_e32 v[0:1], v0
	v_mul_f64 v[0:1], v[0:1], s[2:3]
	v_cvt_f32_f64_e32 v5, v[0:1]
	ds_read2_b64 v[0:3], v124 offset0:78 offset1:91
	v_mad_u64_u32 v[6:7], s[4:5], s0, v37, v[6:7]
	;; [unrolled: 28-line block ×4, first 2 shown]
	v_add_u32_e32 v7, s1, v7
	global_store_dwordx2 v[6:7], v[4:5], off
	s_waitcnt lgkmcnt(0)
	v_mul_f32_e32 v4, v33, v1
	v_fmac_f32_e32 v4, v32, v0
	v_mul_f32_e32 v0, v33, v0
	v_fma_f32 v0, v32, v1, -v0
	v_cvt_f64_f32_e32 v[4:5], v4
	v_cvt_f64_f32_e32 v[0:1], v0
	v_mul_f64 v[4:5], v[4:5], s[2:3]
	v_mul_f64 v[0:1], v[0:1], s[2:3]
	v_cvt_f32_f64_e32 v4, v[4:5]
	v_cvt_f32_f64_e32 v5, v[0:1]
	v_mad_u64_u32 v[0:1], s[4:5], s0, v37, v[6:7]
	v_add_u32_e32 v1, s1, v1
	global_store_dwordx2 v[0:1], v[4:5], off
	v_mul_f32_e32 v4, v31, v3
	v_fmac_f32_e32 v4, v30, v2
	v_mul_f32_e32 v2, v31, v2
	v_fma_f32 v2, v30, v3, -v2
	v_cvt_f64_f32_e32 v[4:5], v4
	v_cvt_f64_f32_e32 v[2:3], v2
	v_mul_f64 v[4:5], v[4:5], s[2:3]
	v_mul_f64 v[2:3], v[2:3], s[2:3]
	v_cvt_f32_f64_e32 v4, v[4:5]
	v_cvt_f32_f64_e32 v5, v[2:3]
	ds_read_b64 v[2:3], v124 offset:1248
	v_mad_u64_u32 v[0:1], s[4:5], s0, v37, v[0:1]
	v_add_u32_e32 v1, s1, v1
	global_store_dwordx2 v[0:1], v[4:5], off
	s_waitcnt lgkmcnt(0)
	v_mul_f32_e32 v4, v29, v3
	v_fmac_f32_e32 v4, v28, v2
	v_mul_f32_e32 v2, v29, v2
	v_fma_f32 v2, v28, v3, -v2
	v_cvt_f64_f32_e32 v[4:5], v4
	v_cvt_f64_f32_e32 v[2:3], v2
	v_mul_f64 v[4:5], v[4:5], s[2:3]
	v_mul_f64 v[2:3], v[2:3], s[2:3]
	v_mad_u64_u32 v[0:1], s[2:3], s0, v37, v[0:1]
	v_cvt_f32_f64_e32 v4, v[4:5]
	v_cvt_f32_f64_e32 v5, v[2:3]
	v_add_u32_e32 v1, s1, v1
	global_store_dwordx2 v[0:1], v[4:5], off
.LBB0_2:
	s_endpgm
	.section	.rodata,"a",@progbits
	.p2align	6, 0x0
	.amdhsa_kernel bluestein_single_fwd_len169_dim1_sp_op_CI_CI
		.amdhsa_group_segment_fixed_size 25688
		.amdhsa_private_segment_fixed_size 0
		.amdhsa_kernarg_size 104
		.amdhsa_user_sgpr_count 6
		.amdhsa_user_sgpr_private_segment_buffer 1
		.amdhsa_user_sgpr_dispatch_ptr 0
		.amdhsa_user_sgpr_queue_ptr 0
		.amdhsa_user_sgpr_kernarg_segment_ptr 1
		.amdhsa_user_sgpr_dispatch_id 0
		.amdhsa_user_sgpr_flat_scratch_init 0
		.amdhsa_user_sgpr_kernarg_preload_length 0
		.amdhsa_user_sgpr_kernarg_preload_offset 0
		.amdhsa_user_sgpr_private_segment_size 0
		.amdhsa_uses_dynamic_stack 0
		.amdhsa_system_sgpr_private_segment_wavefront_offset 0
		.amdhsa_system_sgpr_workgroup_id_x 1
		.amdhsa_system_sgpr_workgroup_id_y 0
		.amdhsa_system_sgpr_workgroup_id_z 0
		.amdhsa_system_sgpr_workgroup_info 0
		.amdhsa_system_vgpr_workitem_id 0
		.amdhsa_next_free_vgpr 236
		.amdhsa_next_free_sgpr 60
		.amdhsa_accum_offset 236
		.amdhsa_reserve_vcc 1
		.amdhsa_reserve_flat_scratch 0
		.amdhsa_float_round_mode_32 0
		.amdhsa_float_round_mode_16_64 0
		.amdhsa_float_denorm_mode_32 3
		.amdhsa_float_denorm_mode_16_64 3
		.amdhsa_dx10_clamp 1
		.amdhsa_ieee_mode 1
		.amdhsa_fp16_overflow 0
		.amdhsa_tg_split 0
		.amdhsa_exception_fp_ieee_invalid_op 0
		.amdhsa_exception_fp_denorm_src 0
		.amdhsa_exception_fp_ieee_div_zero 0
		.amdhsa_exception_fp_ieee_overflow 0
		.amdhsa_exception_fp_ieee_underflow 0
		.amdhsa_exception_fp_ieee_inexact 0
		.amdhsa_exception_int_div_zero 0
	.end_amdhsa_kernel
	.text
.Lfunc_end0:
	.size	bluestein_single_fwd_len169_dim1_sp_op_CI_CI, .Lfunc_end0-bluestein_single_fwd_len169_dim1_sp_op_CI_CI
                                        ; -- End function
	.section	.AMDGPU.csdata,"",@progbits
; Kernel info:
; codeLenInByte = 13124
; NumSgprs: 64
; NumVgprs: 236
; NumAgprs: 0
; TotalNumVgprs: 236
; ScratchSize: 0
; MemoryBound: 0
; FloatMode: 240
; IeeeMode: 1
; LDSByteSize: 25688 bytes/workgroup (compile time only)
; SGPRBlocks: 7
; VGPRBlocks: 29
; NumSGPRsForWavesPerEU: 64
; NumVGPRsForWavesPerEU: 236
; AccumOffset: 236
; Occupancy: 2
; WaveLimiterHint : 1
; COMPUTE_PGM_RSRC2:SCRATCH_EN: 0
; COMPUTE_PGM_RSRC2:USER_SGPR: 6
; COMPUTE_PGM_RSRC2:TRAP_HANDLER: 0
; COMPUTE_PGM_RSRC2:TGID_X_EN: 1
; COMPUTE_PGM_RSRC2:TGID_Y_EN: 0
; COMPUTE_PGM_RSRC2:TGID_Z_EN: 0
; COMPUTE_PGM_RSRC2:TIDIG_COMP_CNT: 0
; COMPUTE_PGM_RSRC3_GFX90A:ACCUM_OFFSET: 58
; COMPUTE_PGM_RSRC3_GFX90A:TG_SPLIT: 0
	.text
	.p2alignl 6, 3212836864
	.fill 256, 4, 3212836864
	.type	__hip_cuid_f45c52d3026e0aed,@object ; @__hip_cuid_f45c52d3026e0aed
	.section	.bss,"aw",@nobits
	.globl	__hip_cuid_f45c52d3026e0aed
__hip_cuid_f45c52d3026e0aed:
	.byte	0                               ; 0x0
	.size	__hip_cuid_f45c52d3026e0aed, 1

	.ident	"AMD clang version 19.0.0git (https://github.com/RadeonOpenCompute/llvm-project roc-6.4.0 25133 c7fe45cf4b819c5991fe208aaa96edf142730f1d)"
	.section	".note.GNU-stack","",@progbits
	.addrsig
	.addrsig_sym __hip_cuid_f45c52d3026e0aed
	.amdgpu_metadata
---
amdhsa.kernels:
  - .agpr_count:     0
    .args:
      - .actual_access:  read_only
        .address_space:  global
        .offset:         0
        .size:           8
        .value_kind:     global_buffer
      - .actual_access:  read_only
        .address_space:  global
        .offset:         8
        .size:           8
        .value_kind:     global_buffer
      - .actual_access:  read_only
        .address_space:  global
        .offset:         16
        .size:           8
        .value_kind:     global_buffer
      - .actual_access:  read_only
        .address_space:  global
        .offset:         24
        .size:           8
        .value_kind:     global_buffer
      - .actual_access:  read_only
        .address_space:  global
        .offset:         32
        .size:           8
        .value_kind:     global_buffer
      - .offset:         40
        .size:           8
        .value_kind:     by_value
      - .address_space:  global
        .offset:         48
        .size:           8
        .value_kind:     global_buffer
      - .address_space:  global
        .offset:         56
        .size:           8
        .value_kind:     global_buffer
      - .address_space:  global
        .offset:         64
        .size:           8
        .value_kind:     global_buffer
      - .address_space:  global
        .offset:         72
        .size:           8
        .value_kind:     global_buffer
      - .offset:         80
        .size:           4
        .value_kind:     by_value
      - .address_space:  global
        .offset:         88
        .size:           8
        .value_kind:     global_buffer
      - .address_space:  global
        .offset:         96
        .size:           8
        .value_kind:     global_buffer
    .group_segment_fixed_size: 25688
    .kernarg_segment_align: 8
    .kernarg_segment_size: 104
    .language:       OpenCL C
    .language_version:
      - 2
      - 0
    .max_flat_workgroup_size: 247
    .name:           bluestein_single_fwd_len169_dim1_sp_op_CI_CI
    .private_segment_fixed_size: 0
    .sgpr_count:     64
    .sgpr_spill_count: 0
    .symbol:         bluestein_single_fwd_len169_dim1_sp_op_CI_CI.kd
    .uniform_work_group_size: 1
    .uses_dynamic_stack: false
    .vgpr_count:     236
    .vgpr_spill_count: 0
    .wavefront_size: 64
amdhsa.target:   amdgcn-amd-amdhsa--gfx90a
amdhsa.version:
  - 1
  - 2
...

	.end_amdgpu_metadata
